;; amdgpu-corpus repo=ROCm/aiter kind=harvested arch=n/a opt=n/a

/root/src/amdgpu-assembly/repos/ROCm__aiter/hsa/gfx950/fmoe/silu/fmoe_bf16_pertokenFp8_g1u1_vs_silu_1tg_32x128.co:	file format elf64-amdgpu

Disassembly of section .text:

0000000000002e00 <_ZN5aiter45fmoe_bf16_pertokenFp8_g1u1_vs_silu_1tg_32x128E>:
	s_and_b32 s1, s1, 0xffff                                   // 000000002E00: 8601FF01 0000FFFF
	s_load_dwordx2 s[8:9], s[0:1], 0x0                         // 000000002E08: C0060200 00000000
	s_load_dwordx2 s[20:21], s[0:1], 0x10                      // 000000002E10: C0060500 00000010
	s_load_dwordx2 s[24:25], s[0:1], 0x20                      // 000000002E18: C0060600 00000020
	s_load_dwordx2 s[50:51], s[0:1], 0x30                      // 000000002E20: C0060C80 00000030
	s_load_dwordx2 s[12:13], s[0:1], 0x40                      // 000000002E28: C0060300 00000040
	s_load_dwordx2 s[28:29], s[0:1], 0x50                      // 000000002E30: C0060700 00000050
	s_load_dwordx2 s[32:33], s[0:1], 0x60                      // 000000002E38: C0060800 00000060
	s_load_dwordx2 s[16:17], s[0:1], 0x70                      // 000000002E40: C0060400 00000070
	s_load_dwordx2 s[36:37], s[0:1], 0x80                      // 000000002E48: C0060900 00000080
	s_load_dwordx2 s[44:45], s[0:1], 0x90                      // 000000002E50: C0060B00 00000090
	s_load_dwordx2 s[40:41], s[0:1], 0xa0                      // 000000002E58: C0060A00 000000A0
	s_load_dwordx2 s[46:47], s[0:1], 0xb0                      // 000000002E60: C0060B80 000000B0
	s_load_dword s64, s[0:1], 0xc0                             // 000000002E68: C0021000 000000C0
	s_load_dword s65, s[0:1], 0xd0                             // 000000002E70: C0021040 000000D0
	s_load_dword s66, s[0:1], 0xe0                             // 000000002E78: C0021080 000000E0
	s_load_dword s67, s[0:1], 0xf0                             // 000000002E80: C00210C0 000000F0
	s_load_dword s68, s[0:1], 0x100                            // 000000002E88: C0021100 00000100
	s_load_dword s69, s[0:1], 0x110                            // 000000002E90: C0021140 00000110
	s_load_dword s70, s[0:1], 0x120                            // 000000002E98: C0021180 00000120
	s_load_dword s71, s[0:1], 0x130                            // 000000002EA0: C00211C0 00000130
	s_load_dword s72, s[0:1], 0x140                            // 000000002EA8: C0021200 00000140
	s_load_dword s73, s[0:1], 0x150                            // 000000002EB0: C0021240 00000150
	s_load_dword s74, s[0:1], 0x160                            // 000000002EB8: C0021280 00000160
	s_load_dword s75, s[0:1], 0x170                            // 000000002EC0: C00212C0 00000170
	s_load_dword s76, s[0:1], 0x180                            // 000000002EC8: C0021300 00000180
	v_lshrrev_b32_e32 v1, 10, v0                               // 000000002ED0: 2002008A
	v_lshrrev_b32_e32 v2, 10, v1                               // 000000002ED4: 2004028A
	v_and_b32_e32 v2, 0x3ff, v2                                // 000000002ED8: 260404FF 000003FF
	v_and_b32_e32 v1, 0x3ff, v1                                // 000000002EE0: 260202FF 000003FF
	v_and_b32_e32 v0, 0x3ff, v0                                // 000000002EE8: 260000FF 000003FF
	v_lshrrev_b32_e32 v3, 6, v0                                // 000000002EF0: 20060086
	v_and_b32_e32 v0, 63, v0                                   // 000000002EF4: 260000BF
	s_mov_b32 s2, s2                                           // 000000002EF8: BE820002
	s_mov_b32 s3, s3                                           // 000000002EFC: BE830003
	s_mov_b32 s4, s4                                           // 000000002F00: BE840004
	v_readfirstlane_b32 s7, v3                                 // 000000002F04: 7E0E0503
	s_waitcnt lgkmcnt(0)                                       // 000000002F08: BF8CC07F
	s_and_b32 s51, s51, 0xffff                                 // 000000002F0C: 8633FF33 0000FFFF
	s_load_dword s50, s[50:51], 0x0                            // 000000002F14: C0020C99 00000000
	s_and_b32 s45, s45, 0xffff                                 // 000000002F1C: 862DFF2D 0000FFFF
	s_and_b32 s47, s47, 0xffff                                 // 000000002F24: 862FFF2F 0000FFFF
	s_and_b32 s9, s9, 0xffff                                   // 000000002F2C: 8609FF09 0000FFFF
	s_mul_i32 s60, s66, s68                                    // 000000002F34: 923C4442
	s_mul_i32 s61, s66, 4                                      // 000000002F38: 923D8442
	s_mov_b32 s22, s60                                         // 000000002F3C: BE96003C
	s_mov_b32 s26, -16                                         // 000000002F40: BE9A00D0
	s_mov_b32 s14, -16                                         // 000000002F44: BE8E00D0
	s_mov_b32 s42, -16                                         // 000000002F48: BEAA00D0
	s_mov_b32 s30, s61                                         // 000000002F4C: BE9E003D
	s_mov_b32 s34, 0x200                                       // 000000002F50: BEA200FF 00000200
	s_mov_b32 s38, 0x200                                       // 000000002F58: BEA600FF 00000200
	s_mov_b32 s18, -16                                         // 000000002F60: BE9200D0
	s_mov_b32 s23, 0x20000                                     // 000000002F64: BE9700FF 00020000
	s_mov_b32 s27, 0x20000                                     // 000000002F6C: BE9B00FF 00020000
	s_mov_b32 s15, 0x20000                                     // 000000002F74: BE8F00FF 00020000
	s_mov_b32 s43, 0x20000                                     // 000000002F7C: BEAB00FF 00020000
	s_mov_b32 s31, 0x20000                                     // 000000002F84: BE9F00FF 00020000
	s_mov_b32 s35, 0x20000                                     // 000000002F8C: BEA300FF 00020000
	s_mov_b32 s39, 0x20000                                     // 000000002F94: BEA700FF 00020000
	s_mov_b32 s19, 0x20000                                     // 000000002F9C: BE9300FF 00020000
	s_and_b32 s21, s21, 0xffff                                 // 000000002FA4: 8615FF15 0000FFFF
	s_and_b32 s25, s25, 0xffff                                 // 000000002FAC: 8619FF19 0000FFFF
	s_and_b32 s13, s13, 0xffff                                 // 000000002FB4: 860DFF0D 0000FFFF
	s_and_b32 s41, s41, 0xffff                                 // 000000002FBC: 8629FF29 0000FFFF
	s_and_b32 s29, s29, 0xffff                                 // 000000002FC4: 861DFF1D 0000FFFF
	s_and_b32 s33, s33, 0xffff                                 // 000000002FCC: 8621FF21 0000FFFF
	s_and_b32 s37, s37, 0xffff                                 // 000000002FD4: 8625FF25 0000FFFF
	s_and_b32 s17, s17, 0xffff                                 // 000000002FDC: 8611FF11 0000FFFF
	s_or_b32 s21, s21, 0x40000                                 // 000000002FE4: 8715FF15 00040000
	s_or_b32 s25, s25, 0x40000                                 // 000000002FEC: 8719FF19 00040000
	s_or_b32 s13, s13, 0x40000                                 // 000000002FF4: 870DFF0D 00040000
	s_or_b32 s41, s41, 0x40000                                 // 000000002FFC: 8729FF29 00040000
	s_or_b32 s29, s29, 0x40000                                 // 000000003004: 871DFF1D 00040000
	s_or_b32 s33, s33, 0x40000                                 // 00000000300C: 8721FF21 00040000
	s_or_b32 s37, s37, 0x40000                                 // 000000003014: 8725FF25 00040000
	s_or_b32 s17, s17, 0x40000                                 // 00000000301C: 8711FF11 00040000
	v_accvgpr_write_b32 a63, 0                                 // 000000003024: D3D9403F 18000080
	v_mov_b32_e32 v207, 0                                      // 00000000302C: 7F9E0280
	s_waitcnt lgkmcnt(0)                                       // 000000003030: BF8CC07F
	s_mul_i32 s60, s3, 32                                      // 000000003034: 923CA003
	s_cmp_lt_i32 s60, s50                                      // 000000003038: BF04323C
	s_cbranch_scc0 label_13D6                                  // 00000000303C: BF841346
	s_mov_b32 s80, 0                                           // 000000003040: BED00080
	s_mov_b32 s81, s64                                         // 000000003044: BED10040
	s_mul_i32 s60, s3, 4                                       // 000000003048: 923C8403
	s_add_u32 s46, s60, s46                                    // 00000000304C: 802E2E3C
	s_addc_u32 s47, 0, s47                                     // 000000003050: 822F2F80
	s_load_dword s5, s[46:47], 0x0                             // 000000003054: C0020157 00000000
	s_mul_i32 s60, s3, 32                                      // 00000000305C: 923CA003
	s_mul_i32 s60, 4, s60                                      // 000000003060: 923C3C84
	v_and_b32_e32 v44, 15, v0                                  // 000000003064: 2658008F
	v_lshlrev_b32_e32 v44, 2, v44                              // 000000003068: 24585882
	v_add_u32_e32 v44, s60, v44                                // 00000000306C: 6858583C
	v_mov_b32_e32 v45, 0                                       // 000000003070: 7E5A0280
	global_load_dword v6, v44, s[44:45]                        // 000000003074: DC508000 062C002C
	v_add_u32_e32 v44, 64, v44                                 // 00000000307C: 685858C0
	global_load_dword v7, v44, s[44:45]                        // 000000003080: DC508000 072C002C
	s_mul_i32 s60, s3, 32                                      // 000000003088: 923CA003
	s_add_u32 s60, s7, s60                                     // 00000000308C: 803C3C07
	s_mul_i32 s60, 4, s60                                      // 000000003090: 923C3C84
	s_add_u32 s44, s60, s44                                    // 000000003094: 802C2C3C
	s_addc_u32 s45, 0, s45                                     // 000000003098: 822D2D80
	s_load_dword s82, s[44:45], 0x0                            // 00000000309C: C0021496 00000000
	s_load_dword s83, s[44:45], 0x10                           // 0000000030A4: C00214D6 00000010
	s_load_dword s84, s[44:45], 0x20                           // 0000000030AC: C0021516 00000020
	s_load_dword s85, s[44:45], 0x30                           // 0000000030B4: C0021556 00000030
	s_load_dword s86, s[44:45], 0x40                           // 0000000030BC: C0021596 00000040
	s_load_dword s87, s[44:45], 0x50                           // 0000000030C4: C00215D6 00000050
	s_load_dword s88, s[44:45], 0x60                           // 0000000030CC: C0021616 00000060
	s_load_dword s89, s[44:45], 0x70                           // 0000000030D4: C0021656 00000070
	s_waitcnt lgkmcnt(0)                                       // 0000000030DC: BF8CC07F
	v_lshlrev_b32_e32 v44, 2, v0                               // 0000000030E0: 24580082
	s_and_b32 s82, s82, 0xffffff                               // 0000000030E4: 8652FF52 00FFFFFF
	s_mul_i32 s60, s82, s68                                    // 0000000030EC: 923C4452
	v_add_u32_e64 v24, v44, s60                                // 0000000030F0: D1340018 0000792C
	s_and_b32 s83, s83, 0xffffff                               // 0000000030F8: 8653FF53 00FFFFFF
	s_mul_i32 s60, s83, s68                                    // 000000003100: 923C4453
	v_add_u32_e64 v25, v44, s60                                // 000000003104: D1340019 0000792C
	s_and_b32 s84, s84, 0xffffff                               // 00000000310C: 8654FF54 00FFFFFF
	s_mul_i32 s60, s84, s68                                    // 000000003114: 923C4454
	v_add_u32_e64 v26, v44, s60                                // 000000003118: D134001A 0000792C
	s_and_b32 s85, s85, 0xffffff                               // 000000003120: 8655FF55 00FFFFFF
	s_mul_i32 s60, s85, s68                                    // 000000003128: 923C4455
	v_add_u32_e64 v27, v44, s60                                // 00000000312C: D134001B 0000792C
	s_and_b32 s86, s86, 0xffffff                               // 000000003134: 8656FF56 00FFFFFF
	s_mul_i32 s60, s86, s68                                    // 00000000313C: 923C4456
	v_add_u32_e64 v28, v44, s60                                // 000000003140: D134001C 0000792C
	s_and_b32 s87, s87, 0xffffff                               // 000000003148: 8657FF57 00FFFFFF
	s_mul_i32 s60, s87, s68                                    // 000000003150: 923C4457
	v_add_u32_e64 v29, v44, s60                                // 000000003154: D134001D 0000792C
	s_and_b32 s88, s88, 0xffffff                               // 00000000315C: 8658FF58 00FFFFFF
	s_mul_i32 s60, s88, s68                                    // 000000003164: 923C4458
	v_add_u32_e64 v30, v44, s60                                // 000000003168: D134001E 0000792C
	s_and_b32 s89, s89, 0xffffff                               // 000000003170: 8659FF59 00FFFFFF
	s_mul_i32 s60, s89, s68                                    // 000000003178: 923C4459
	v_add_u32_e64 v31, v44, s60                                // 00000000317C: D134001F 0000792C
	v_lshlrev_b32_e32 v44, 2, v0                               // 000000003184: 24580082
	s_mul_i32 s60, s82, s71                                    // 000000003188: 923C4752
	v_add_u32_e64 v80, v44, s60                                // 00000000318C: D1340050 0000792C
	v_mov_b32_e32 v81, 0                                       // 000000003194: 7EA20280
	s_mul_i32 s60, s83, s71                                    // 000000003198: 923C4753
	v_add_u32_e64 v82, v44, s60                                // 00000000319C: D1340052 0000792C
	v_mov_b32_e32 v83, 0                                       // 0000000031A4: 7EA60280
	s_mul_i32 s60, s84, s71                                    // 0000000031A8: 923C4754
	v_add_u32_e64 v84, v44, s60                                // 0000000031AC: D1340054 0000792C
	v_mov_b32_e32 v85, 0                                       // 0000000031B4: 7EAA0280
	s_mul_i32 s60, s85, s71                                    // 0000000031B8: 923C4755
	v_add_u32_e64 v86, v44, s60                                // 0000000031BC: D1340056 0000792C
	v_mov_b32_e32 v87, 0                                       // 0000000031C4: 7EAE0280
	s_mul_i32 s60, s86, s71                                    // 0000000031C8: 923C4756
	v_add_u32_e64 v88, v44, s60                                // 0000000031CC: D1340058 0000792C
	v_mov_b32_e32 v89, 0                                       // 0000000031D4: 7EB20280
	s_mul_i32 s60, s87, s71                                    // 0000000031D8: 923C4757
	v_add_u32_e64 v90, v44, s60                                // 0000000031DC: D134005A 0000792C
	v_mov_b32_e32 v91, 0                                       // 0000000031E4: 7EB60280
	s_mul_i32 s60, s88, s71                                    // 0000000031E8: 923C4758
	v_add_u32_e64 v92, v44, s60                                // 0000000031EC: D134005C 0000792C
	v_mov_b32_e32 v93, 0                                       // 0000000031F4: 7EBA0280
	s_mul_i32 s60, s89, s71                                    // 0000000031F8: 923C4759
	v_add_u32_e64 v94, v44, s60                                // 0000000031FC: D134005E 0000792C
	v_mov_b32_e32 v95, 0                                       // 000000003204: 7EBE0280
	s_mul_i32 s60, s7, 0x820                                   // 000000003208: 923CFF07 00000820
	s_add_u32 s50, 0, s60                                      // 000000003210: 80323C80
	s_add_u32 s51, 0x2080, s50                                 // 000000003214: 803332FF 00002080
	v_lshrrev_b32_e32 v44, 4, v0                               // 00000000321C: 20580084
	v_lshlrev_b32_e32 v45, 2, v44                              // 000000003220: 245A5882
	v_and_b32_e32 v44, 15, v0                                  // 000000003224: 2658008F
	v_lshrrev_b32_e32 v46, 2, v44                              // 000000003228: 205C5882
	v_lshlrev_b32_e32 v46, 6, v46                              // 00000000322C: 245C5C86
	v_add_u32_e32 v45, v46, v45                                // 000000003230: 685A5B2E
	v_and_b32_e32 v44, 3, v0                                   // 000000003234: 26580083
	v_mul_i32_i24_e32 v46, 0x208, v44                          // 000000003238: 0C5C58FF 00000208
	v_add_u32_e32 v45, v46, v45                                // 000000003240: 685A5B2E
	v_lshlrev_b32_e32 v2, 2, v45                               // 000000003244: 24045A82
	s_mul_i32 s60, s2, 0x80                                    // 000000003248: 923CFF02 00000080
	s_mul_i32 s60, s60, s69                                    // 000000003250: 923C453C
	s_mul_i32 s61, s5, s72                                     // 000000003254: 923D4805
	s_add_u32 s60, s61, s60                                    // 000000003258: 803C3C3D
	s_add_u32 s24, s60, s24                                    // 00000000325C: 8018183C
	s_addc_u32 s25, 0, s25                                     // 000000003260: 82191980
	s_mul_i32 s60, s7, 16                                      // 000000003264: 923C9007
	s_mul_i32 s60, s60, s69                                    // 000000003268: 923C453C
	v_lshlrev_b32_e32 v32, 4, v0                               // 00000000326C: 24400084
	v_add_u32_e32 v32, s60, v32                                // 000000003270: 6840403C
	s_mul_i32 s60, 64, s69                                     // 000000003274: 923C45C0
	v_add_u32_e32 v33, s60, v32                                // 000000003278: 6842403C
	s_mov_b32 s92, s24                                         // 00000000327C: BEDC0018
	s_mov_b32 s93, s25                                         // 000000003280: BEDD0019
	s_mov_b32 s94, s26                                         // 000000003284: BEDE001A
	s_mov_b32 s95, s27                                         // 000000003288: BEDF001B
	s_mul_i32 s60, s69, s65                                    // 00000000328C: 923C4145
	s_add_u32 s92, s60, s92                                    // 000000003290: 805C5C3C
	s_addc_u32 s93, 0, s93                                     // 000000003294: 825D5D80
	s_mul_i32 s60, s2, 0x800                                   // 000000003298: 923CFF02 00000800
	s_mul_i32 s61, s5, s73                                     // 0000000032A0: 923D4905
	s_add_u32 s60, s61, s60                                    // 0000000032A4: 803C3C3D
	s_add_u32 s12, s60, s12                                    // 0000000032A8: 800C0C3C
	s_addc_u32 s13, 0, s13                                     // 0000000032AC: 820D0D80
	s_mul_i32 s60, s7, 16                                      // 0000000032B0: 923C9007
	s_mul_i32 s60, s60, s70                                    // 0000000032B4: 923C463C
	v_lshlrev_b32_e32 v34, 4, v0                               // 0000000032B8: 24440084
	v_add_u32_e32 v34, s60, v34                                // 0000000032BC: 6844443C
	s_mul_i32 s60, 64, s70                                     // 0000000032C0: 923C46C0
	v_add_u32_e32 v35, s60, v34                                // 0000000032C4: 6846443C
	v_add_u32_e32 v36, s60, v35                                // 0000000032C8: 6848463C
	v_add_u32_e32 v37, s60, v36                                // 0000000032CC: 684A483C
	s_mul_i32 s60, s70, 0x100                                  // 0000000032D0: 923CFF46 00000100
	s_mov_b32 s78, 0x400                                       // 0000000032D8: BECE00FF 00000400
	s_mul_i32 s61, s78, 1                                      // 0000000032E0: 923D814E
	s_sub_u32 s56, s60, s61                                    // 0000000032E4: 80B83D3C
	s_mul_i32 s60, s3, 32                                      // 0000000032E8: 923CA003
	s_mul_i32 s60, 4, s60                                      // 0000000032EC: 923C3C84
	s_add_u32 s40, s60, s40                                    // 0000000032F0: 8028283C
	s_addc_u32 s41, 0, s41                                     // 0000000032F4: 82292980
	v_and_b32_e32 v44, 15, v0                                  // 0000000032F8: 2658008F
	v_lshlrev_b32_e32 v8, 2, v44                               // 0000000032FC: 24105882
	v_add_u32_e32 v9, 64, v8                                   // 000000003300: 681210C0
	v_lshrrev_b32_e32 v44, 4, v0                               // 000000003304: 20580084
	v_lshlrev_b32_e32 v45, 2, v44                              // 000000003308: 245A5882
	v_and_b32_e32 v44, 15, v0                                  // 00000000330C: 2658008F
	v_lshrrev_b32_e32 v46, 2, v44                              // 000000003310: 205C5882
	v_lshlrev_b32_e32 v46, 6, v46                              // 000000003314: 245C5C86
	v_add_u32_e32 v45, v46, v45                                // 000000003318: 685A5B2E
	v_and_b32_e32 v44, 3, v0                                   // 00000000331C: 26580083
	v_add_u32_e32 v45, v44, v45                                // 000000003320: 685A5B2C
	v_lshlrev_b32_e32 v10, 2, v45                              // 000000003324: 24145A82
	v_add_u32_e32 v11, 0x400, v10                              // 000000003328: 681614FF 00000400
	s_mul_i32 s60, s7, 16                                      // 000000003330: 923C9007
	s_mul_i32 s60, s60, 4                                      // 000000003334: 923C843C
	v_add_u32_e32 v10, s60, v10                                // 000000003338: 6814143C
	v_add_u32_e32 v11, s60, v11                                // 00000000333C: 6816163C
	v_mov_b32_e32 v5, v10                                      // 000000003340: 7E0A030A
	s_mul_i32 s60, s2, 0x80                                    // 000000003344: 923CFF02 00000080
	s_mul_i32 s60, s60, 4                                      // 00000000334C: 923C843C
	s_mul_i32 s61, s5, s74                                     // 000000003350: 923D4A05
	s_add_u32 s61, s61, s60                                    // 000000003354: 803D3C3D
	s_mul_i32 s62, s5, s76                                     // 000000003358: 923E4C05
	s_add_u32 s62, s62, s60                                    // 00000000335C: 803E3C3E
	s_add_u32 s32, s61, s32                                    // 000000003360: 8020203D
	s_addc_u32 s33, 0, s33                                     // 000000003364: 82212180
	s_add_u32 s36, s62, s36                                    // 000000003368: 8024243E
	s_addc_u32 s37, 0, s37                                     // 00000000336C: 82252580
	s_mul_i32 s60, s5, s75                                     // 000000003370: 923C4B05
	s_add_u32 s16, s60, s16                                    // 000000003374: 8010103C
	s_addc_u32 s17, 0, s17                                     // 000000003378: 82111180
	s_mov_b32 s57, 0x100                                       // 00000000337C: BEB900FF 00000100
	s_mov_b32 s58, 0x1000                                      // 000000003384: BEBA00FF 00001000
	s_mov_b32 s79, 0x400                                       // 00000000338C: BECF00FF 00000400
	s_mov_b32 s59, 0                                           // 000000003394: BEBB0080
	s_mov_b32 s90, s58                                         // 000000003398: BEDA003A
	s_mov_b32 s52, 0x7060302                                   // 00000000339C: BEB400FF 07060302
	s_mov_b32 s53, 0x400                                       // 0000000033A4: BEB500FF 00000400
	s_mov_b32 s54, 0x40100                                     // 0000000033AC: BEB600FF 00040100
	s_mov_b32 s55, 0x4020100                                   // 0000000033B4: BEB700FF 04020100
	s_mov_b32 s6, 0x3fb8aa3b                                   // 0000000033BC: BE8600FF 3FB8AA3B
	s_mov_b32 s77, 0xbd92220c                                  // 0000000033C4: BECD00FF BD92220C
	s_mov_b32 m0, s50                                          // 0000000033CC: BEFC0032
	v_mov_b32_e32 v1, 0xbfcc4231                               // 0000000033D0: 7E0202FF BFCC4231
	v_mov_b32_e32 v39, 0xffff0000                              // 0000000033D8: 7E4E02FF FFFF0000
	v_mov_b32_e32 v40, 0x7fff0000                              // 0000000033E0: 7E5002FF 7FFF0000
	v_mov_b32_e32 v41, 0x7fff                                  // 0000000033E8: 7E5202FF 00007FFF
	s_waitcnt vmcnt(0) expcnt(0) lgkmcnt(0)                    // 0000000033F0: BF8C0000
	v_and_b32_e32 v6, 0xffffff, v6                             // 0000000033F4: 260C0CFF 00FFFFFF
	v_and_b32_e32 v7, 0xffffff, v7                             // 0000000033FC: 260E0EFF 00FFFFFF
	v_lshlrev_b32_e32 v6, 2, v6                                // 000000003404: 240C0C82
	v_lshlrev_b32_e32 v7, 2, v7                                // 000000003408: 240E0E82
	buffer_load_dword v13, v6, s[28:31], 0 offen               // 00000000340C: E0501000 80070D06
	buffer_load_dword v14, v7, s[28:31], 0 offen               // 000000003414: E0501000 80070E07
	buffer_load_dword v15, v10, s[32:35], 0 offen              // 00000000341C: E0501000 80080F0A
	buffer_load_dword v16, v11, s[32:35], 0 offen              // 000000003424: E0501000 8008100B
	s_mul_i32 s60, 4, s65                                      // 00000000342C: 923C4184
	s_add_u32 s32, s60, s32                                    // 000000003430: 8020203C
	s_addc_u32 s33, 0, s33                                     // 000000003434: 82212180
	buffer_load_dword v42, v10, s[32:35], 0 offen              // 000000003438: E0501000 80082A0A
	buffer_load_dword v43, v11, s[32:35], 0 offen              // 000000003440: E0501000 80082B0B
	buffer_load_dword v17, v8, s[40:43], 0 offen               // 000000003448: E0501000 800A1108
	buffer_load_dword v18, v9, s[40:43], 0 offen               // 000000003450: E0501000 800A1209
	buffer_load_dword v24, s[20:23], 0 offen lds               // 000000003458: E0511000 80050018
	s_add_u32 m0, 0x100, s50                                   // 000000003460: 807C32FF 00000100
	buffer_load_dword v25, s[20:23], 0 offen lds               // 000000003468: E0511000 80050019
	s_add_u32 m0, 0x200, s50                                   // 000000003470: 807C32FF 00000200
	buffer_load_dword v26, s[20:23], 0 offen lds               // 000000003478: E0511000 8005001A
	s_add_u32 m0, 0x300, s50                                   // 000000003480: 807C32FF 00000300
	buffer_load_dword v27, s[20:23], 0 offen lds               // 000000003488: E0511000 8005001B
	s_add_u32 m0, 0x400, s50                                   // 000000003490: 807C32FF 00000400
	buffer_load_dword v28, s[20:23], 0 offen lds               // 000000003498: E0511000 8005001C
	s_add_u32 m0, 0x500, s50                                   // 0000000034A0: 807C32FF 00000500
	buffer_load_dword v29, s[20:23], 0 offen lds               // 0000000034A8: E0511000 8005001D
	s_add_u32 m0, 0x600, s50                                   // 0000000034B0: 807C32FF 00000600
	buffer_load_dword v30, s[20:23], 0 offen lds               // 0000000034B8: E0511000 8005001E
	s_add_u32 m0, 0x700, s50                                   // 0000000034C0: 807C32FF 00000700
	buffer_load_dword v31, s[20:23], 0 offen lds               // 0000000034C8: E0511000 8005001F
	s_add_u32 m0, 0, s51                                       // 0000000034D0: 807C3380
	s_add_u32 s20, s57, s20                                    // 0000000034D4: 80141439
	s_addc_u32 s21, 0, s21                                     // 0000000034D8: 82151580
	buffer_load_dwordx4 a[0:3], v32, s[24:27], 0 offen         // 0000000034DC: E05C1000 80860020
	buffer_load_dwordx4 a[4:7], v32, s[24:27], 0 offen offset:1024// 0000000034E4: E05C1400 80860420
	buffer_load_dwordx4 a[8:11], v32, s[24:27], 0 offen offset:2048// 0000000034EC: E05C1800 80860820
	buffer_load_dwordx4 a[12:15], v32, s[24:27], 0 offen offset:3072// 0000000034F4: E05C1C00 80860C20
	buffer_load_dwordx4 a[16:19], v33, s[24:27], 0 offen       // 0000000034FC: E05C1000 80861021
	buffer_load_dwordx4 a[20:23], v33, s[24:27], 0 offen offset:1024// 000000003504: E05C1400 80861421
	buffer_load_dwordx4 a[24:27], v33, s[24:27], 0 offen offset:2048// 00000000350C: E05C1800 80861821
	buffer_load_dwordx4 a[28:31], v33, s[24:27], 0 offen offset:3072// 000000003514: E05C1C00 80861C21
	s_add_u32 s24, s58, s24                                    // 00000000351C: 8018183A
	s_addc_u32 s25, 0, s25                                     // 000000003520: 82191980
	v_mov_b32_e32 v128, 0                                      // 000000003524: 7F000280
	v_mov_b32_e32 v64, 0                                       // 000000003528: 7E800280
	v_mov_b32_e32 v129, 0                                      // 00000000352C: 7F020280
	v_mov_b32_e32 v65, 0                                       // 000000003530: 7E820280
	v_mov_b32_e32 v130, 0                                      // 000000003534: 7F040280
	v_mov_b32_e32 v66, 0                                       // 000000003538: 7E840280
	v_mov_b32_e32 v131, 0                                      // 00000000353C: 7F060280
	v_mov_b32_e32 v67, 0                                       // 000000003540: 7E860280
	v_mov_b32_e32 v132, 0                                      // 000000003544: 7F080280
	v_mov_b32_e32 v68, 0                                       // 000000003548: 7E880280
	v_mov_b32_e32 v133, 0                                      // 00000000354C: 7F0A0280
	v_mov_b32_e32 v69, 0                                       // 000000003550: 7E8A0280
	v_mov_b32_e32 v134, 0                                      // 000000003554: 7F0C0280
	v_mov_b32_e32 v70, 0                                       // 000000003558: 7E8C0280
	v_mov_b32_e32 v135, 0                                      // 00000000355C: 7F0E0280
	v_mov_b32_e32 v71, 0                                       // 000000003560: 7E8E0280
	v_mov_b32_e32 v136, 0                                      // 000000003564: 7F100280
	v_mov_b32_e32 v72, 0                                       // 000000003568: 7E900280
	v_mov_b32_e32 v137, 0                                      // 00000000356C: 7F120280
	v_mov_b32_e32 v73, 0                                       // 000000003570: 7E920280
	v_mov_b32_e32 v138, 0                                      // 000000003574: 7F140280
	v_mov_b32_e32 v74, 0                                       // 000000003578: 7E940280
	v_mov_b32_e32 v139, 0                                      // 00000000357C: 7F160280
	v_mov_b32_e32 v75, 0                                       // 000000003580: 7E960280
	v_mov_b32_e32 v140, 0                                      // 000000003584: 7F180280
	v_mov_b32_e32 v76, 0                                       // 000000003588: 7E980280
	v_mov_b32_e32 v141, 0                                      // 00000000358C: 7F1A0280
	v_mov_b32_e32 v77, 0                                       // 000000003590: 7E9A0280
	v_mov_b32_e32 v142, 0                                      // 000000003594: 7F1C0280
	v_mov_b32_e32 v78, 0                                       // 000000003598: 7E9C0280
	v_mov_b32_e32 v143, 0                                      // 00000000359C: 7F1E0280
	v_mov_b32_e32 v79, 0                                       // 0000000035A0: 7E9E0280
	v_lshrrev_b32_e32 v44, 4, v0                               // 0000000035A4: 20580084
	v_mul_i32_i24_e32 v3, 34, v44                              // 0000000035A8: 0C0658A2
	v_and_b32_e32 v44, 15, v0                                  // 0000000035AC: 2658008F
	v_mul_i32_i24_e32 v45, 2, v44                              // 0000000035B0: 0C5A5882
	v_add_u32_e32 v3, v45, v3                                  // 0000000035B4: 6806072D
	s_mul_i32 s60, s7, 0x88                                    // 0000000035B8: 923CFF07 00000088
	v_add_u32_e32 v3, s60, v3                                  // 0000000035C0: 6806063C
	v_lshlrev_b32_e32 v3, 2, v3                                // 0000000035C4: 24060682
	v_lshrrev_b32_e32 v44, 1, v0                               // 0000000035C8: 20580081
	v_mul_i32_i24_e32 v4, 34, v44                              // 0000000035CC: 0C0858A2
	v_and_b32_e32 v45, 1, v0                                   // 0000000035D0: 265A0081
	v_add_u32_e32 v4, v45, v4                                  // 0000000035D4: 6808092D
	s_mul_i32 s60, s7, 2                                       // 0000000035D8: 923C8207
	v_add_u32_e32 v4, s60, v4                                  // 0000000035DC: 6808083C
	v_lshlrev_b32_e32 v4, 2, v4                                // 0000000035E0: 24080882
	s_waitcnt vmcnt(8)                                         // 0000000035E4: BF8C0F78
	s_barrier                                                  // 0000000035E8: BF8A0000
	ds_read_b128 v[144:147], v2                                // 0000000035EC: D9FE0000 90000002
	ds_read_b128 v[148:151], v2 offset:64                      // 0000000035F4: D9FE0040 94000002
	ds_read_b128 v[152:155], v2 offset:128                     // 0000000035FC: D9FE0080 98000002
	ds_read_b128 v[156:159], v2 offset:192                     // 000000003604: D9FE00C0 9C000002
	ds_read_b128 v[160:163], v2 offset:1024                    // 00000000360C: D9FE0400 A0000002
	ds_read_b128 v[164:167], v2 offset:1088                    // 000000003614: D9FE0440 A4000002
	ds_read_b128 v[168:171], v2 offset:1152                    // 00000000361C: D9FE0480 A8000002
	ds_read_b128 v[172:175], v2 offset:1216                    // 000000003624: D9FE04C0 AC000002
	s_cmp_lt_i32 s7, 2                                         // 00000000362C: BF048207
	s_cbranch_scc0 label_0A4A                                  // 000000003630: BF84083D

0000000000003634 <label_020D>:
	s_waitcnt vmcnt(0) lgkmcnt(0)                              // 000000003634: BF8C0070
	s_barrier                                                  // 000000003638: BF8A0000
	v_mfma_f32_16x16x32_fp8_fp8 v[128:131], a[0:1], v[144:145], v[128:131]// 00000000363C: D3F30080 0E032100
	v_mfma_f32_16x16x32_fp8_fp8 v[128:131], a[2:3], v[146:147], v[128:131]// 000000003644: D3F30080 0E032502
	buffer_load_dwordx4 a[32:35], v32, s[92:95], 0 offen       // 00000000364C: E05C1000 80972020
	v_mfma_f32_16x16x32_fp8_fp8 v[128:131], a[4:5], v[148:149], v[128:131]// 000000003654: D3F30080 0E032904
	v_mfma_f32_16x16x32_fp8_fp8 v[128:131], a[6:7], v[150:151], v[128:131]// 00000000365C: D3F30080 0E032D06
	buffer_load_dword v24, s[20:23], 0 offen lds               // 000000003664: E0511000 80050018
	s_add_u32 m0, 0x100, s51                                   // 00000000366C: 807C33FF 00000100
	v_mfma_f32_16x16x32_fp8_fp8 v[128:131], a[8:9], v[152:153], v[128:131]// 000000003674: D3F30080 0E033108
	v_mfma_f32_16x16x32_fp8_fp8 v[128:131], a[10:11], v[154:155], v[128:131]// 00000000367C: D3F30080 0E03350A
	buffer_load_dwordx4 a[36:39], v32, s[92:95], 0 offen offset:1024// 000000003684: E05C1400 80972420
	v_mfma_f32_16x16x32_fp8_fp8 v[128:131], a[12:13], v[156:157], v[128:131]// 00000000368C: D3F30080 0E03390C
	v_mfma_f32_16x16x32_fp8_fp8 v[128:131], a[14:15], v[158:159], v[128:131]// 000000003694: D3F30080 0E033D0E
	buffer_load_dword v25, s[20:23], 0 offen lds               // 00000000369C: E0511000 80050019
	s_add_u32 m0, 0x200, s51                                   // 0000000036A4: 807C33FF 00000200
	v_mfma_f32_16x16x32_fp8_fp8 v[132:135], a[0:1], v[160:161], v[132:135]// 0000000036AC: D3F30084 0E134100
	v_mfma_f32_16x16x32_fp8_fp8 v[132:135], a[2:3], v[162:163], v[132:135]// 0000000036B4: D3F30084 0E134502
	buffer_load_dwordx4 a[40:43], v32, s[92:95], 0 offen offset:2048// 0000000036BC: E05C1800 80972820
	v_mfma_f32_16x16x32_fp8_fp8 v[132:135], a[4:5], v[164:165], v[132:135]// 0000000036C4: D3F30084 0E134904
	v_mfma_f32_16x16x32_fp8_fp8 v[132:135], a[6:7], v[166:167], v[132:135]// 0000000036CC: D3F30084 0E134D06
	buffer_load_dword v26, s[20:23], 0 offen lds               // 0000000036D4: E0511000 8005001A
	s_add_u32 m0, 0x300, s51                                   // 0000000036DC: 807C33FF 00000300
	v_mfma_f32_16x16x32_fp8_fp8 v[132:135], a[8:9], v[168:169], v[132:135]// 0000000036E4: D3F30084 0E135108
	v_mfma_f32_16x16x32_fp8_fp8 v[132:135], a[10:11], v[170:171], v[132:135]// 0000000036EC: D3F30084 0E13550A
	buffer_load_dwordx4 a[44:47], v32, s[92:95], 0 offen offset:3072// 0000000036F4: E05C1C00 80972C20
	v_mfma_f32_16x16x32_fp8_fp8 v[132:135], a[12:13], v[172:173], v[132:135]// 0000000036FC: D3F30084 0E13590C
	v_mfma_f32_16x16x32_fp8_fp8 v[132:135], a[14:15], v[174:175], v[132:135]// 000000003704: D3F30084 0E135D0E
	buffer_load_dword v27, s[20:23], 0 offen lds               // 00000000370C: E0511000 8005001B
	s_add_u32 m0, 0x400, s51                                   // 000000003714: 807C33FF 00000400
	v_mfma_f32_16x16x32_fp8_fp8 v[136:139], a[16:17], v[144:145], v[136:139]// 00000000371C: D3F30088 0E232110
	v_mfma_f32_16x16x32_fp8_fp8 v[136:139], a[18:19], v[146:147], v[136:139]// 000000003724: D3F30088 0E232512
	buffer_load_dwordx4 a[48:51], v33, s[92:95], 0 offen       // 00000000372C: E05C1000 80973021
	v_mfma_f32_16x16x32_fp8_fp8 v[136:139], a[20:21], v[148:149], v[136:139]// 000000003734: D3F30088 0E232914
	v_mfma_f32_16x16x32_fp8_fp8 v[136:139], a[22:23], v[150:151], v[136:139]// 00000000373C: D3F30088 0E232D16
	buffer_load_dword v28, s[20:23], 0 offen lds               // 000000003744: E0511000 8005001C
	s_add_u32 m0, 0x500, s51                                   // 00000000374C: 807C33FF 00000500
	v_mfma_f32_16x16x32_fp8_fp8 v[136:139], a[24:25], v[152:153], v[136:139]// 000000003754: D3F30088 0E233118
	v_mfma_f32_16x16x32_fp8_fp8 v[136:139], a[26:27], v[154:155], v[136:139]// 00000000375C: D3F30088 0E23351A
	buffer_load_dwordx4 a[52:55], v33, s[92:95], 0 offen offset:1024// 000000003764: E05C1400 80973421
	v_mfma_f32_16x16x32_fp8_fp8 v[136:139], a[28:29], v[156:157], v[136:139]// 00000000376C: D3F30088 0E23391C
	v_mfma_f32_16x16x32_fp8_fp8 v[136:139], a[30:31], v[158:159], v[136:139]// 000000003774: D3F30088 0E233D1E
	buffer_load_dword v29, s[20:23], 0 offen lds               // 00000000377C: E0511000 8005001D
	s_add_u32 m0, 0x600, s51                                   // 000000003784: 807C33FF 00000600
	v_mfma_f32_16x16x32_fp8_fp8 v[140:143], a[16:17], v[160:161], v[140:143]// 00000000378C: D3F3008C 0E334110
	v_mfma_f32_16x16x32_fp8_fp8 v[140:143], a[18:19], v[162:163], v[140:143]// 000000003794: D3F3008C 0E334512
	buffer_load_dwordx4 a[56:59], v33, s[92:95], 0 offen offset:2048// 00000000379C: E05C1800 80973821
	v_mfma_f32_16x16x32_fp8_fp8 v[140:143], a[20:21], v[164:165], v[140:143]// 0000000037A4: D3F3008C 0E334914
	v_mfma_f32_16x16x32_fp8_fp8 v[140:143], a[22:23], v[166:167], v[140:143]// 0000000037AC: D3F3008C 0E334D16
	buffer_load_dword v30, s[20:23], 0 offen lds               // 0000000037B4: E0511000 8005001E
	s_add_u32 m0, 0x700, s51                                   // 0000000037BC: 807C33FF 00000700
	v_mfma_f32_16x16x32_fp8_fp8 v[140:143], a[24:25], v[168:169], v[140:143]// 0000000037C4: D3F3008C 0E335118
	v_mfma_f32_16x16x32_fp8_fp8 v[140:143], a[26:27], v[170:171], v[140:143]// 0000000037CC: D3F3008C 0E33551A
	buffer_load_dwordx4 a[60:63], v33, s[92:95], 0 offen offset:3072// 0000000037D4: E05C1C00 80973C21
	v_mfma_f32_16x16x32_fp8_fp8 v[140:143], a[28:29], v[172:173], v[140:143]// 0000000037DC: D3F3008C 0E33591C
	v_mfma_f32_16x16x32_fp8_fp8 v[140:143], a[30:31], v[174:175], v[140:143]// 0000000037E4: D3F3008C 0E335D1E
	buffer_load_dword v31, s[20:23], 0 offen lds               // 0000000037EC: E0511000 8005001F
	s_add_u32 m0, 0, s50                                       // 0000000037F4: 807C3280
	s_waitcnt vmcnt(0)                                         // 0000000037F8: BF8C0F70
	s_barrier                                                  // 0000000037FC: BF8A0000
	v_mfma_f32_16x16x32_fp8_fp8 v[64:67], a[32:33], v[144:145], v[64:67]// 000000003800: D3F30040 0D032120
	v_mfma_f32_16x16x32_fp8_fp8 v[64:67], a[34:35], v[146:147], v[64:67]// 000000003808: D3F30040 0D032522
	buffer_load_dwordx4 a[0:3], v32, s[24:27], 0 offen         // 000000003810: E05C1000 80860020
	v_mfma_f32_16x16x32_fp8_fp8 v[64:67], a[36:37], v[148:149], v[64:67]// 000000003818: D3F30040 0D032924
	v_mfma_f32_16x16x32_fp8_fp8 v[64:67], a[38:39], v[150:151], v[64:67]// 000000003820: D3F30040 0D032D26
	ds_read_b128 v[176:179], v2 offset:8320                    // 000000003828: D9FE2080 B0000002
	v_mfma_f32_16x16x32_fp8_fp8 v[64:67], a[40:41], v[152:153], v[64:67]// 000000003830: D3F30040 0D033128
	v_mfma_f32_16x16x32_fp8_fp8 v[64:67], a[42:43], v[154:155], v[64:67]// 000000003838: D3F30040 0D03352A
	buffer_load_dwordx4 a[4:7], v32, s[24:27], 0 offen offset:1024// 000000003840: E05C1400 80860420
	v_mfma_f32_16x16x32_fp8_fp8 v[64:67], a[44:45], v[156:157], v[64:67]// 000000003848: D3F30040 0D03392C
	v_mfma_f32_16x16x32_fp8_fp8 v[64:67], a[46:47], v[158:159], v[64:67]// 000000003850: D3F30040 0D033D2E
	ds_read_b128 v[180:183], v2 offset:8384                    // 000000003858: D9FE20C0 B4000002
	v_mfma_f32_16x16x32_fp8_fp8 v[68:71], a[32:33], v[160:161], v[68:71]// 000000003860: D3F30044 0D134120
	v_mfma_f32_16x16x32_fp8_fp8 v[68:71], a[34:35], v[162:163], v[68:71]// 000000003868: D3F30044 0D134522
	buffer_load_dwordx4 a[8:11], v32, s[24:27], 0 offen offset:2048// 000000003870: E05C1800 80860820
	v_mfma_f32_16x16x32_fp8_fp8 v[68:71], a[36:37], v[164:165], v[68:71]// 000000003878: D3F30044 0D134924
	v_mfma_f32_16x16x32_fp8_fp8 v[68:71], a[38:39], v[166:167], v[68:71]// 000000003880: D3F30044 0D134D26
	ds_read_b128 v[184:187], v2 offset:8448                    // 000000003888: D9FE2100 B8000002
	v_mfma_f32_16x16x32_fp8_fp8 v[68:71], a[40:41], v[168:169], v[68:71]// 000000003890: D3F30044 0D135128
	v_mfma_f32_16x16x32_fp8_fp8 v[68:71], a[42:43], v[170:171], v[68:71]// 000000003898: D3F30044 0D13552A
	buffer_load_dwordx4 a[12:15], v32, s[24:27], 0 offen offset:3072// 0000000038A0: E05C1C00 80860C20
	v_mfma_f32_16x16x32_fp8_fp8 v[68:71], a[44:45], v[172:173], v[68:71]// 0000000038A8: D3F30044 0D13592C
	v_mfma_f32_16x16x32_fp8_fp8 v[68:71], a[46:47], v[174:175], v[68:71]// 0000000038B0: D3F30044 0D135D2E
	ds_read_b128 v[188:191], v2 offset:8512                    // 0000000038B8: D9FE2140 BC000002
	v_mfma_f32_16x16x32_fp8_fp8 v[72:75], a[48:49], v[144:145], v[72:75]// 0000000038C0: D3F30048 0D232130
	v_mfma_f32_16x16x32_fp8_fp8 v[72:75], a[50:51], v[146:147], v[72:75]// 0000000038C8: D3F30048 0D232532
	buffer_load_dwordx4 a[16:19], v33, s[24:27], 0 offen       // 0000000038D0: E05C1000 80861021
	v_mfma_f32_16x16x32_fp8_fp8 v[72:75], a[52:53], v[148:149], v[72:75]// 0000000038D8: D3F30048 0D232934
	v_mfma_f32_16x16x32_fp8_fp8 v[72:75], a[54:55], v[150:151], v[72:75]// 0000000038E0: D3F30048 0D232D36
	ds_read_b128 v[192:195], v2 offset:9344                    // 0000000038E8: D9FE2480 C0000002
	v_mfma_f32_16x16x32_fp8_fp8 v[72:75], a[56:57], v[152:153], v[72:75]// 0000000038F0: D3F30048 0D233138
	v_mfma_f32_16x16x32_fp8_fp8 v[72:75], a[58:59], v[154:155], v[72:75]// 0000000038F8: D3F30048 0D23353A
	buffer_load_dwordx4 a[20:23], v33, s[24:27], 0 offen offset:1024// 000000003900: E05C1400 80861421
	v_mfma_f32_16x16x32_fp8_fp8 v[72:75], a[60:61], v[156:157], v[72:75]// 000000003908: D3F30048 0D23393C
	v_mfma_f32_16x16x32_fp8_fp8 v[72:75], a[62:63], v[158:159], v[72:75]// 000000003910: D3F30048 0D233D3E
	ds_read_b128 v[196:199], v2 offset:9408                    // 000000003918: D9FE24C0 C4000002
	v_mfma_f32_16x16x32_fp8_fp8 v[76:79], a[48:49], v[160:161], v[76:79]// 000000003920: D3F3004C 0D334130
	v_mfma_f32_16x16x32_fp8_fp8 v[76:79], a[50:51], v[162:163], v[76:79]// 000000003928: D3F3004C 0D334532
	buffer_load_dwordx4 a[24:27], v33, s[24:27], 0 offen offset:2048// 000000003930: E05C1800 80861821
	v_mfma_f32_16x16x32_fp8_fp8 v[76:79], a[52:53], v[164:165], v[76:79]// 000000003938: D3F3004C 0D334934
	v_mfma_f32_16x16x32_fp8_fp8 v[76:79], a[54:55], v[166:167], v[76:79]// 000000003940: D3F3004C 0D334D36
	ds_read_b128 v[200:203], v2 offset:9472                    // 000000003948: D9FE2500 C8000002
	v_mfma_f32_16x16x32_fp8_fp8 v[76:79], a[56:57], v[168:169], v[76:79]// 000000003950: D3F3004C 0D335138
	v_mfma_f32_16x16x32_fp8_fp8 v[76:79], a[58:59], v[170:171], v[76:79]// 000000003958: D3F3004C 0D33553A
	buffer_load_dwordx4 a[28:31], v33, s[24:27], 0 offen offset:3072// 000000003960: E05C1C00 80861C21
	v_mfma_f32_16x16x32_fp8_fp8 v[76:79], a[60:61], v[172:173], v[76:79]// 000000003968: D3F3004C 0D33593C
	v_mfma_f32_16x16x32_fp8_fp8 v[76:79], a[62:63], v[174:175], v[76:79]// 000000003970: D3F3004C 0D335D3E
	ds_read_b128 v[204:207], v2 offset:9536                    // 000000003978: D9FE2540 CC000002
	s_add_u32 s60, 0x200, s80                                  // 000000003980: 803C50FF 00000200
	s_cmp_lt_u32 s60, s81                                      // 000000003988: BF0A513C
	s_cselect_b32 s57, s57, 0                                  // 00000000398C: 85398039
	s_add_u32 s60, 0x200, s80                                  // 000000003990: 803C50FF 00000200
	s_cmp_lt_u32 s60, s81                                      // 000000003998: BF0A513C
	s_cselect_b32 s58, s58, 0                                  // 00000000399C: 853A803A
	s_add_u32 s20, s57, s20                                    // 0000000039A0: 80141439
	s_addc_u32 s21, 0, s21                                     // 0000000039A4: 82151580
	s_add_u32 s24, s58, s24                                    // 0000000039A8: 8018183A
	s_addc_u32 s25, 0, s25                                     // 0000000039AC: 82191980
	s_add_u32 s92, s90, s92                                    // 0000000039B0: 805C5C5A
	s_addc_u32 s93, 0, s93                                     // 0000000039B4: 825D5D80
	s_addk_i32 s80, 0x100                                      // 0000000039B8: B7500100
	s_cmp_lt_i32 s80, s81                                      // 0000000039BC: BF045150
	s_cbranch_scc0 label_03D6                                  // 0000000039C0: BF8400E5
	s_waitcnt vmcnt(0) lgkmcnt(0)                              // 0000000039C4: BF8C0070
	s_barrier                                                  // 0000000039C8: BF8A0000
	v_mfma_f32_16x16x32_fp8_fp8 v[128:131], a[0:1], v[176:177], v[128:131]// 0000000039CC: D3F30080 0E036100
	v_mfma_f32_16x16x32_fp8_fp8 v[128:131], a[2:3], v[178:179], v[128:131]// 0000000039D4: D3F30080 0E036502
	buffer_load_dwordx4 a[32:35], v32, s[92:95], 0 offen       // 0000000039DC: E05C1000 80972020
	v_mfma_f32_16x16x32_fp8_fp8 v[128:131], a[4:5], v[180:181], v[128:131]// 0000000039E4: D3F30080 0E036904
	v_mfma_f32_16x16x32_fp8_fp8 v[128:131], a[6:7], v[182:183], v[128:131]// 0000000039EC: D3F30080 0E036D06
	buffer_load_dword v24, s[20:23], 0 offen lds               // 0000000039F4: E0511000 80050018
	s_add_u32 m0, 0x100, s50                                   // 0000000039FC: 807C32FF 00000100
	v_mfma_f32_16x16x32_fp8_fp8 v[128:131], a[8:9], v[184:185], v[128:131]// 000000003A04: D3F30080 0E037108
	v_mfma_f32_16x16x32_fp8_fp8 v[128:131], a[10:11], v[186:187], v[128:131]// 000000003A0C: D3F30080 0E03750A
	buffer_load_dwordx4 a[36:39], v32, s[92:95], 0 offen offset:1024// 000000003A14: E05C1400 80972420
	v_mfma_f32_16x16x32_fp8_fp8 v[128:131], a[12:13], v[188:189], v[128:131]// 000000003A1C: D3F30080 0E03790C
	v_mfma_f32_16x16x32_fp8_fp8 v[128:131], a[14:15], v[190:191], v[128:131]// 000000003A24: D3F30080 0E037D0E
	buffer_load_dword v25, s[20:23], 0 offen lds               // 000000003A2C: E0511000 80050019
	s_add_u32 m0, 0x200, s50                                   // 000000003A34: 807C32FF 00000200
	v_mfma_f32_16x16x32_fp8_fp8 v[132:135], a[0:1], v[192:193], v[132:135]// 000000003A3C: D3F30084 0E138100
	v_mfma_f32_16x16x32_fp8_fp8 v[132:135], a[2:3], v[194:195], v[132:135]// 000000003A44: D3F30084 0E138502
	buffer_load_dwordx4 a[40:43], v32, s[92:95], 0 offen offset:2048// 000000003A4C: E05C1800 80972820
	v_mfma_f32_16x16x32_fp8_fp8 v[132:135], a[4:5], v[196:197], v[132:135]// 000000003A54: D3F30084 0E138904
	v_mfma_f32_16x16x32_fp8_fp8 v[132:135], a[6:7], v[198:199], v[132:135]// 000000003A5C: D3F30084 0E138D06
	buffer_load_dword v26, s[20:23], 0 offen lds               // 000000003A64: E0511000 8005001A
	s_add_u32 m0, 0x300, s50                                   // 000000003A6C: 807C32FF 00000300
	v_mfma_f32_16x16x32_fp8_fp8 v[132:135], a[8:9], v[200:201], v[132:135]// 000000003A74: D3F30084 0E139108
	v_mfma_f32_16x16x32_fp8_fp8 v[132:135], a[10:11], v[202:203], v[132:135]// 000000003A7C: D3F30084 0E13950A
	buffer_load_dwordx4 a[44:47], v32, s[92:95], 0 offen offset:3072// 000000003A84: E05C1C00 80972C20
	v_mfma_f32_16x16x32_fp8_fp8 v[132:135], a[12:13], v[204:205], v[132:135]// 000000003A8C: D3F30084 0E13990C
	v_mfma_f32_16x16x32_fp8_fp8 v[132:135], a[14:15], v[206:207], v[132:135]// 000000003A94: D3F30084 0E139D0E
	buffer_load_dword v27, s[20:23], 0 offen lds               // 000000003A9C: E0511000 8005001B
	s_add_u32 m0, 0x400, s50                                   // 000000003AA4: 807C32FF 00000400
	v_mfma_f32_16x16x32_fp8_fp8 v[136:139], a[16:17], v[176:177], v[136:139]// 000000003AAC: D3F30088 0E236110
	v_mfma_f32_16x16x32_fp8_fp8 v[136:139], a[18:19], v[178:179], v[136:139]// 000000003AB4: D3F30088 0E236512
	buffer_load_dwordx4 a[48:51], v33, s[92:95], 0 offen       // 000000003ABC: E05C1000 80973021
	v_mfma_f32_16x16x32_fp8_fp8 v[136:139], a[20:21], v[180:181], v[136:139]// 000000003AC4: D3F30088 0E236914
	v_mfma_f32_16x16x32_fp8_fp8 v[136:139], a[22:23], v[182:183], v[136:139]// 000000003ACC: D3F30088 0E236D16
	buffer_load_dword v28, s[20:23], 0 offen lds               // 000000003AD4: E0511000 8005001C
	s_add_u32 m0, 0x500, s50                                   // 000000003ADC: 807C32FF 00000500
	v_mfma_f32_16x16x32_fp8_fp8 v[136:139], a[24:25], v[184:185], v[136:139]// 000000003AE4: D3F30088 0E237118
	v_mfma_f32_16x16x32_fp8_fp8 v[136:139], a[26:27], v[186:187], v[136:139]// 000000003AEC: D3F30088 0E23751A
	buffer_load_dwordx4 a[52:55], v33, s[92:95], 0 offen offset:1024// 000000003AF4: E05C1400 80973421
	v_mfma_f32_16x16x32_fp8_fp8 v[136:139], a[28:29], v[188:189], v[136:139]// 000000003AFC: D3F30088 0E23791C
	v_mfma_f32_16x16x32_fp8_fp8 v[136:139], a[30:31], v[190:191], v[136:139]// 000000003B04: D3F30088 0E237D1E
	buffer_load_dword v29, s[20:23], 0 offen lds               // 000000003B0C: E0511000 8005001D
	s_add_u32 m0, 0x600, s50                                   // 000000003B14: 807C32FF 00000600
	v_mfma_f32_16x16x32_fp8_fp8 v[140:143], a[16:17], v[192:193], v[140:143]// 000000003B1C: D3F3008C 0E338110
	v_mfma_f32_16x16x32_fp8_fp8 v[140:143], a[18:19], v[194:195], v[140:143]// 000000003B24: D3F3008C 0E338512
	buffer_load_dwordx4 a[56:59], v33, s[92:95], 0 offen offset:2048// 000000003B2C: E05C1800 80973821
	v_mfma_f32_16x16x32_fp8_fp8 v[140:143], a[20:21], v[196:197], v[140:143]// 000000003B34: D3F3008C 0E338914
	v_mfma_f32_16x16x32_fp8_fp8 v[140:143], a[22:23], v[198:199], v[140:143]// 000000003B3C: D3F3008C 0E338D16
	buffer_load_dword v30, s[20:23], 0 offen lds               // 000000003B44: E0511000 8005001E
	s_add_u32 m0, 0x700, s50                                   // 000000003B4C: 807C32FF 00000700
	v_mfma_f32_16x16x32_fp8_fp8 v[140:143], a[24:25], v[200:201], v[140:143]// 000000003B54: D3F3008C 0E339118
	v_mfma_f32_16x16x32_fp8_fp8 v[140:143], a[26:27], v[202:203], v[140:143]// 000000003B5C: D3F3008C 0E33951A
	buffer_load_dwordx4 a[60:63], v33, s[92:95], 0 offen offset:3072// 000000003B64: E05C1C00 80973C21
	v_mfma_f32_16x16x32_fp8_fp8 v[140:143], a[28:29], v[204:205], v[140:143]// 000000003B6C: D3F3008C 0E33991C
	v_mfma_f32_16x16x32_fp8_fp8 v[140:143], a[30:31], v[206:207], v[140:143]// 000000003B74: D3F3008C 0E339D1E
	buffer_load_dword v31, s[20:23], 0 offen lds               // 000000003B7C: E0511000 8005001F
	s_add_u32 m0, 0, s51                                       // 000000003B84: 807C3380
	s_waitcnt vmcnt(0)                                         // 000000003B88: BF8C0F70
	s_barrier                                                  // 000000003B8C: BF8A0000
	v_mfma_f32_16x16x32_fp8_fp8 v[64:67], a[32:33], v[176:177], v[64:67]// 000000003B90: D3F30040 0D036120
	v_mfma_f32_16x16x32_fp8_fp8 v[64:67], a[34:35], v[178:179], v[64:67]// 000000003B98: D3F30040 0D036522
	buffer_load_dwordx4 a[0:3], v32, s[24:27], 0 offen         // 000000003BA0: E05C1000 80860020
	v_mfma_f32_16x16x32_fp8_fp8 v[64:67], a[36:37], v[180:181], v[64:67]// 000000003BA8: D3F30040 0D036924
	v_mfma_f32_16x16x32_fp8_fp8 v[64:67], a[38:39], v[182:183], v[64:67]// 000000003BB0: D3F30040 0D036D26
	ds_read_b128 v[144:147], v2                                // 000000003BB8: D9FE0000 90000002
	v_mfma_f32_16x16x32_fp8_fp8 v[64:67], a[40:41], v[184:185], v[64:67]// 000000003BC0: D3F30040 0D037128
	v_mfma_f32_16x16x32_fp8_fp8 v[64:67], a[42:43], v[186:187], v[64:67]// 000000003BC8: D3F30040 0D03752A
	buffer_load_dwordx4 a[4:7], v32, s[24:27], 0 offen offset:1024// 000000003BD0: E05C1400 80860420
	v_mfma_f32_16x16x32_fp8_fp8 v[64:67], a[44:45], v[188:189], v[64:67]// 000000003BD8: D3F30040 0D03792C
	v_mfma_f32_16x16x32_fp8_fp8 v[64:67], a[46:47], v[190:191], v[64:67]// 000000003BE0: D3F30040 0D037D2E
	ds_read_b128 v[148:151], v2 offset:64                      // 000000003BE8: D9FE0040 94000002
	v_mfma_f32_16x16x32_fp8_fp8 v[68:71], a[32:33], v[192:193], v[68:71]// 000000003BF0: D3F30044 0D138120
	v_mfma_f32_16x16x32_fp8_fp8 v[68:71], a[34:35], v[194:195], v[68:71]// 000000003BF8: D3F30044 0D138522
	buffer_load_dwordx4 a[8:11], v32, s[24:27], 0 offen offset:2048// 000000003C00: E05C1800 80860820
	v_mfma_f32_16x16x32_fp8_fp8 v[68:71], a[36:37], v[196:197], v[68:71]// 000000003C08: D3F30044 0D138924
	v_mfma_f32_16x16x32_fp8_fp8 v[68:71], a[38:39], v[198:199], v[68:71]// 000000003C10: D3F30044 0D138D26
	ds_read_b128 v[152:155], v2 offset:128                     // 000000003C18: D9FE0080 98000002
	v_mfma_f32_16x16x32_fp8_fp8 v[68:71], a[40:41], v[200:201], v[68:71]// 000000003C20: D3F30044 0D139128
	v_mfma_f32_16x16x32_fp8_fp8 v[68:71], a[42:43], v[202:203], v[68:71]// 000000003C28: D3F30044 0D13952A
	buffer_load_dwordx4 a[12:15], v32, s[24:27], 0 offen offset:3072// 000000003C30: E05C1C00 80860C20
	v_mfma_f32_16x16x32_fp8_fp8 v[68:71], a[44:45], v[204:205], v[68:71]// 000000003C38: D3F30044 0D13992C
	v_mfma_f32_16x16x32_fp8_fp8 v[68:71], a[46:47], v[206:207], v[68:71]// 000000003C40: D3F30044 0D139D2E
	ds_read_b128 v[156:159], v2 offset:192                     // 000000003C48: D9FE00C0 9C000002
	v_mfma_f32_16x16x32_fp8_fp8 v[72:75], a[48:49], v[176:177], v[72:75]// 000000003C50: D3F30048 0D236130
	v_mfma_f32_16x16x32_fp8_fp8 v[72:75], a[50:51], v[178:179], v[72:75]// 000000003C58: D3F30048 0D236532
	buffer_load_dwordx4 a[16:19], v33, s[24:27], 0 offen       // 000000003C60: E05C1000 80861021
	v_mfma_f32_16x16x32_fp8_fp8 v[72:75], a[52:53], v[180:181], v[72:75]// 000000003C68: D3F30048 0D236934
	v_mfma_f32_16x16x32_fp8_fp8 v[72:75], a[54:55], v[182:183], v[72:75]// 000000003C70: D3F30048 0D236D36
	ds_read_b128 v[160:163], v2 offset:1024                    // 000000003C78: D9FE0400 A0000002
	v_mfma_f32_16x16x32_fp8_fp8 v[72:75], a[56:57], v[184:185], v[72:75]// 000000003C80: D3F30048 0D237138
	v_mfma_f32_16x16x32_fp8_fp8 v[72:75], a[58:59], v[186:187], v[72:75]// 000000003C88: D3F30048 0D23753A
	buffer_load_dwordx4 a[20:23], v33, s[24:27], 0 offen offset:1024// 000000003C90: E05C1400 80861421
	v_mfma_f32_16x16x32_fp8_fp8 v[72:75], a[60:61], v[188:189], v[72:75]// 000000003C98: D3F30048 0D23793C
	v_mfma_f32_16x16x32_fp8_fp8 v[72:75], a[62:63], v[190:191], v[72:75]// 000000003CA0: D3F30048 0D237D3E
	ds_read_b128 v[164:167], v2 offset:1088                    // 000000003CA8: D9FE0440 A4000002
	v_mfma_f32_16x16x32_fp8_fp8 v[76:79], a[48:49], v[192:193], v[76:79]// 000000003CB0: D3F3004C 0D338130
	v_mfma_f32_16x16x32_fp8_fp8 v[76:79], a[50:51], v[194:195], v[76:79]// 000000003CB8: D3F3004C 0D338532
	buffer_load_dwordx4 a[24:27], v33, s[24:27], 0 offen offset:2048// 000000003CC0: E05C1800 80861821
	v_mfma_f32_16x16x32_fp8_fp8 v[76:79], a[52:53], v[196:197], v[76:79]// 000000003CC8: D3F3004C 0D338934
	v_mfma_f32_16x16x32_fp8_fp8 v[76:79], a[54:55], v[198:199], v[76:79]// 000000003CD0: D3F3004C 0D338D36
	ds_read_b128 v[168:171], v2 offset:1152                    // 000000003CD8: D9FE0480 A8000002
	v_mfma_f32_16x16x32_fp8_fp8 v[76:79], a[56:57], v[200:201], v[76:79]// 000000003CE0: D3F3004C 0D339138
	v_mfma_f32_16x16x32_fp8_fp8 v[76:79], a[58:59], v[202:203], v[76:79]// 000000003CE8: D3F3004C 0D33953A
	buffer_load_dwordx4 a[28:31], v33, s[24:27], 0 offen offset:3072// 000000003CF0: E05C1C00 80861C21
	v_mfma_f32_16x16x32_fp8_fp8 v[76:79], a[60:61], v[204:205], v[76:79]// 000000003CF8: D3F3004C 0D33993C
	v_mfma_f32_16x16x32_fp8_fp8 v[76:79], a[62:63], v[206:207], v[76:79]// 000000003D00: D3F3004C 0D339D3E
	ds_read_b128 v[172:175], v2 offset:1216                    // 000000003D08: D9FE04C0 AC000002
	s_add_u32 s60, 0x200, s80                                  // 000000003D10: 803C50FF 00000200
	s_cmp_lt_u32 s60, s81                                      // 000000003D18: BF0A513C
	s_cselect_b32 s57, s57, 0                                  // 000000003D1C: 85398039
	s_add_u32 s60, 0x200, s80                                  // 000000003D20: 803C50FF 00000200
	s_cmp_lt_u32 s60, s81                                      // 000000003D28: BF0A513C
	s_cselect_b32 s58, s58, 0                                  // 000000003D2C: 853A803A
	s_add_u32 s20, s57, s20                                    // 000000003D30: 80141439
	s_addc_u32 s21, 0, s21                                     // 000000003D34: 82151580
	s_add_u32 s24, s58, s24                                    // 000000003D38: 8018183A
	s_addc_u32 s25, 0, s25                                     // 000000003D3C: 82191980
	s_add_u32 s92, s90, s92                                    // 000000003D40: 805C5C5A
	s_addc_u32 s93, 0, s93                                     // 000000003D44: 825D5D80
	s_addk_i32 s80, 0x100                                      // 000000003D48: B7500100
	s_cmp_lt_i32 s80, s81                                      // 000000003D4C: BF045150
	s_cbranch_scc0 label_03D6                                  // 000000003D50: BF840001
	s_branch label_020D                                        // 000000003D54: BF82FE37

0000000000003d58 <label_03D6>:
	s_mov_b32 s20, 0                                           // 000000003D58: BE940080
	s_cmp_lt_u32 s89, s66                                      // 000000003D5C: BF0A4259
	s_cselect_b32 s60, 0, 1                                    // 000000003D60: 853C8180
	s_lshl1_add_u32 s20, s20, s60                              // 000000003D64: 97143C14
	s_cmp_lt_u32 s88, s66                                      // 000000003D68: BF0A4258
	s_cselect_b32 s60, 0, 1                                    // 000000003D6C: 853C8180
	s_lshl1_add_u32 s20, s20, s60                              // 000000003D70: 97143C14
	s_cmp_lt_u32 s87, s66                                      // 000000003D74: BF0A4257
	s_cselect_b32 s60, 0, 1                                    // 000000003D78: 853C8180
	s_lshl1_add_u32 s20, s20, s60                              // 000000003D7C: 97143C14
	s_cmp_lt_u32 s86, s66                                      // 000000003D80: BF0A4256
	s_cselect_b32 s60, 0, 1                                    // 000000003D84: 853C8180
	s_lshl1_add_u32 s20, s20, s60                              // 000000003D88: 97143C14
	s_cmp_lt_u32 s85, s66                                      // 000000003D8C: BF0A4255
	s_cselect_b32 s60, 0, 1                                    // 000000003D90: 853C8180
	s_lshl1_add_u32 s20, s20, s60                              // 000000003D94: 97143C14
	s_cmp_lt_u32 s84, s66                                      // 000000003D98: BF0A4254
	s_cselect_b32 s60, 0, 1                                    // 000000003D9C: 853C8180
	s_lshl1_add_u32 s20, s20, s60                              // 000000003DA0: 97143C14
	s_cmp_lt_u32 s83, s66                                      // 000000003DA4: BF0A4253
	s_cselect_b32 s60, 0, 1                                    // 000000003DA8: 853C8180
	s_lshl1_add_u32 s20, s20, s60                              // 000000003DAC: 97143C14
	s_cmp_lt_u32 s82, s66                                      // 000000003DB0: BF0A4252
	s_cselect_b32 s60, 0, 1                                    // 000000003DB4: 853C8180
	s_lshl1_add_u32 s20, s20, s60                              // 000000003DB8: 97143C14
	v_mul_f32_e32 v128, v13, v128                              // 000000003DBC: 0B01010D
	v_mul_f32_e32 v129, v13, v129                              // 000000003DC0: 0B03030D
	v_mul_f32_e32 v130, v13, v130                              // 000000003DC4: 0B05050D
	v_mul_f32_e32 v131, v13, v131                              // 000000003DC8: 0B07070D
	v_mul_f32_dpp v128, v15, v128 row_newbcast:0 row_mask:0xf bank_mask:0xf// 000000003DCC: 0B0100FA FF01500F
	v_mul_f32_dpp v129, v15, v129 row_newbcast:1 row_mask:0xf bank_mask:0xf// 000000003DD4: 0B0302FA FF01510F
	v_mul_f32_dpp v130, v15, v130 row_newbcast:2 row_mask:0xf bank_mask:0xf// 000000003DDC: 0B0504FA FF01520F
	v_mul_f32_dpp v131, v15, v131 row_newbcast:3 row_mask:0xf bank_mask:0xf// 000000003DE4: 0B0706FA FF01530F
	v_mul_f32_e32 v132, v14, v132                              // 000000003DEC: 0B09090E
	v_mul_f32_e32 v133, v14, v133                              // 000000003DF0: 0B0B0B0E
	v_mul_f32_e32 v134, v14, v134                              // 000000003DF4: 0B0D0D0E
	v_mul_f32_e32 v135, v14, v135                              // 000000003DF8: 0B0F0F0E
	v_mul_f32_dpp v132, v15, v132 row_newbcast:0 row_mask:0xf bank_mask:0xf// 000000003DFC: 0B0908FA FF01500F
	v_mul_f32_dpp v133, v15, v133 row_newbcast:1 row_mask:0xf bank_mask:0xf// 000000003E04: 0B0B0AFA FF01510F
	v_mul_f32_dpp v134, v15, v134 row_newbcast:2 row_mask:0xf bank_mask:0xf// 000000003E0C: 0B0D0CFA FF01520F
	v_mul_f32_dpp v135, v15, v135 row_newbcast:3 row_mask:0xf bank_mask:0xf// 000000003E14: 0B0F0EFA FF01530F
	v_mul_f32_e32 v136, v13, v136                              // 000000003E1C: 0B11110D
	v_mul_f32_e32 v137, v13, v137                              // 000000003E20: 0B13130D
	v_mul_f32_e32 v138, v13, v138                              // 000000003E24: 0B15150D
	v_mul_f32_e32 v139, v13, v139                              // 000000003E28: 0B17170D
	v_mul_f32_dpp v136, v15, v136 row_newbcast:4 row_mask:0xf bank_mask:0xf// 000000003E2C: 0B1110FA FF01540F
	v_mul_f32_dpp v137, v15, v137 row_newbcast:5 row_mask:0xf bank_mask:0xf// 000000003E34: 0B1312FA FF01550F
	v_mul_f32_dpp v138, v15, v138 row_newbcast:6 row_mask:0xf bank_mask:0xf// 000000003E3C: 0B1514FA FF01560F
	v_mul_f32_dpp v139, v15, v139 row_newbcast:7 row_mask:0xf bank_mask:0xf// 000000003E44: 0B1716FA FF01570F
	v_mul_f32_e32 v140, v14, v140                              // 000000003E4C: 0B19190E
	v_mul_f32_e32 v141, v14, v141                              // 000000003E50: 0B1B1B0E
	v_mul_f32_e32 v142, v14, v142                              // 000000003E54: 0B1D1D0E
	v_mul_f32_e32 v143, v14, v143                              // 000000003E58: 0B1F1F0E
	v_mul_f32_dpp v140, v15, v140 row_newbcast:4 row_mask:0xf bank_mask:0xf// 000000003E5C: 0B1918FA FF01540F
	v_mul_f32_dpp v141, v15, v141 row_newbcast:5 row_mask:0xf bank_mask:0xf// 000000003E64: 0B1B1AFA FF01550F
	v_mul_f32_dpp v142, v15, v142 row_newbcast:6 row_mask:0xf bank_mask:0xf// 000000003E6C: 0B1D1CFA FF01560F
	v_mul_f32_dpp v143, v15, v143 row_newbcast:7 row_mask:0xf bank_mask:0xf// 000000003E74: 0B1F1EFA FF01570F
	v_mul_f32_e32 v64, v13, v64                                // 000000003E7C: 0A80810D
	v_mul_f32_e32 v65, v13, v65                                // 000000003E80: 0A82830D
	v_mul_f32_e32 v66, v13, v66                                // 000000003E84: 0A84850D
	v_mul_f32_e32 v67, v13, v67                                // 000000003E88: 0A86870D
	v_mul_f32_dpp v64, v42, v64 row_newbcast:0 row_mask:0xf bank_mask:0xf// 000000003E8C: 0A8080FA FF01502A
	v_mul_f32_dpp v65, v42, v65 row_newbcast:1 row_mask:0xf bank_mask:0xf// 000000003E94: 0A8282FA FF01512A
	v_mul_f32_dpp v66, v42, v66 row_newbcast:2 row_mask:0xf bank_mask:0xf// 000000003E9C: 0A8484FA FF01522A
	v_mul_f32_dpp v67, v42, v67 row_newbcast:3 row_mask:0xf bank_mask:0xf// 000000003EA4: 0A8686FA FF01532A
	v_mul_f32_e32 v68, v14, v68                                // 000000003EAC: 0A88890E
	v_mul_f32_e32 v69, v14, v69                                // 000000003EB0: 0A8A8B0E
	v_mul_f32_e32 v70, v14, v70                                // 000000003EB4: 0A8C8D0E
	v_mul_f32_e32 v71, v14, v71                                // 000000003EB8: 0A8E8F0E
	v_mul_f32_dpp v68, v42, v68 row_newbcast:0 row_mask:0xf bank_mask:0xf// 000000003EBC: 0A8888FA FF01502A
	v_mul_f32_dpp v69, v42, v69 row_newbcast:1 row_mask:0xf bank_mask:0xf// 000000003EC4: 0A8A8AFA FF01512A
	v_mul_f32_dpp v70, v42, v70 row_newbcast:2 row_mask:0xf bank_mask:0xf// 000000003ECC: 0A8C8CFA FF01522A
	v_mul_f32_dpp v71, v42, v71 row_newbcast:3 row_mask:0xf bank_mask:0xf// 000000003ED4: 0A8E8EFA FF01532A
	v_mul_f32_e32 v72, v13, v72                                // 000000003EDC: 0A90910D
	v_mul_f32_e32 v73, v13, v73                                // 000000003EE0: 0A92930D
	v_mul_f32_e32 v74, v13, v74                                // 000000003EE4: 0A94950D
	v_mul_f32_e32 v75, v13, v75                                // 000000003EE8: 0A96970D
	v_mul_f32_dpp v72, v42, v72 row_newbcast:4 row_mask:0xf bank_mask:0xf// 000000003EEC: 0A9090FA FF01542A
	v_mul_f32_dpp v73, v42, v73 row_newbcast:5 row_mask:0xf bank_mask:0xf// 000000003EF4: 0A9292FA FF01552A
	v_mul_f32_dpp v74, v42, v74 row_newbcast:6 row_mask:0xf bank_mask:0xf// 000000003EFC: 0A9494FA FF01562A
	v_mul_f32_dpp v75, v42, v75 row_newbcast:7 row_mask:0xf bank_mask:0xf// 000000003F04: 0A9696FA FF01572A
	v_mul_f32_e32 v76, v14, v76                                // 000000003F0C: 0A98990E
	v_mul_f32_e32 v77, v14, v77                                // 000000003F10: 0A9A9B0E
	v_mul_f32_e32 v78, v14, v78                                // 000000003F14: 0A9C9D0E
	v_mul_f32_e32 v79, v14, v79                                // 000000003F18: 0A9E9F0E
	v_mul_f32_dpp v76, v42, v76 row_newbcast:4 row_mask:0xf bank_mask:0xf// 000000003F1C: 0A9898FA FF01542A
	v_mul_f32_dpp v77, v42, v77 row_newbcast:5 row_mask:0xf bank_mask:0xf// 000000003F24: 0A9A9AFA FF01552A
	v_mul_f32_dpp v78, v42, v78 row_newbcast:6 row_mask:0xf bank_mask:0xf// 000000003F2C: 0A9C9CFA FF01562A
	v_mul_f32_dpp v79, v42, v79 row_newbcast:7 row_mask:0xf bank_mask:0xf// 000000003F34: 0A9E9EFA FF01572A
	s_waitcnt vmcnt(4)                                         // 000000003F3C: BF8C0F74
	buffer_load_dwordx4 a[0:3], v34, s[12:15], 0 offen         // 000000003F40: E05C1000 80830022
	v_mul_f32_e64 v44, -v128, s6                               // 000000003F48: D105002C 20000D80
	v_mul_f32_e64 v45, -v129, s6                               // 000000003F50: D105002D 20000D81
	v_mul_f32_e64 v46, -v130, s6                               // 000000003F58: D105002E 20000D82
	v_mul_f32_e64 v47, -v131, s6                               // 000000003F60: D105002F 20000D83
	v_exp_f32_e32 v44, v44                                     // 000000003F68: 7E58412C
	v_exp_f32_e32 v45, v45                                     // 000000003F6C: 7E5A412D
	v_exp_f32_e32 v46, v46                                     // 000000003F70: 7E5C412E
	v_exp_f32_e32 v47, v47                                     // 000000003F74: 7E5E412F
	buffer_load_dwordx4 a[4:7], v35, s[12:15], 0 offen         // 000000003F78: E05C1000 80830423
	v_add_f32_e64 v44, v44, 1.0                                // 000000003F80: D101002C 0001E52C
	v_add_f32_e64 v45, v45, 1.0                                // 000000003F88: D101002D 0001E52D
	v_add_f32_e64 v46, v46, 1.0                                // 000000003F90: D101002E 0001E52E
	v_add_f32_e64 v47, v47, 1.0                                // 000000003F98: D101002F 0001E52F
	v_rcp_f32_e32 v44, v44                                     // 000000003FA0: 7E58452C
	v_rcp_f32_e32 v45, v45                                     // 000000003FA4: 7E5A452D
	v_rcp_f32_e32 v46, v46                                     // 000000003FA8: 7E5C452E
	v_rcp_f32_e32 v47, v47                                     // 000000003FAC: 7E5E452F
	v_mul_f32_e32 v128, v128, v44                              // 000000003FB0: 0B005980
	v_mul_f32_e32 v129, v129, v45                              // 000000003FB4: 0B025B81
	v_mul_f32_e32 v130, v130, v46                              // 000000003FB8: 0B045D82
	v_mul_f32_e32 v131, v131, v47                              // 000000003FBC: 0B065F83
	v_mul_f32_e32 v128, v128, v64                              // 000000003FC0: 0B008180
	v_mul_f32_e32 v129, v129, v65                              // 000000003FC4: 0B028381
	v_mul_f32_e32 v130, v130, v66                              // 000000003FC8: 0B048582
	v_mul_f32_e32 v131, v131, v67                              // 000000003FCC: 0B068783
	buffer_load_dwordx4 a[8:11], v36, s[12:15], 0 offen        // 000000003FD0: E05C1000 80830824
	v_mul_f32_e64 v44, -v132, s6                               // 000000003FD8: D105002C 20000D84
	v_mul_f32_e64 v45, -v133, s6                               // 000000003FE0: D105002D 20000D85
	v_mul_f32_e64 v46, -v134, s6                               // 000000003FE8: D105002E 20000D86
	v_mul_f32_e64 v47, -v135, s6                               // 000000003FF0: D105002F 20000D87
	v_exp_f32_e32 v44, v44                                     // 000000003FF8: 7E58412C
	v_exp_f32_e32 v45, v45                                     // 000000003FFC: 7E5A412D
	v_exp_f32_e32 v46, v46                                     // 000000004000: 7E5C412E
	v_exp_f32_e32 v47, v47                                     // 000000004004: 7E5E412F
	buffer_load_dwordx4 a[12:15], v37, s[12:15], 0 offen       // 000000004008: E05C1000 80830C25
	s_add_u32 s12, s78, s12                                    // 000000004010: 800C0C4E
	s_addc_u32 s13, 0, s13                                     // 000000004014: 820D0D80
	v_add_f32_e64 v44, v44, 1.0                                // 000000004018: D101002C 0001E52C
	v_add_f32_e64 v45, v45, 1.0                                // 000000004020: D101002D 0001E52D
	v_add_f32_e64 v46, v46, 1.0                                // 000000004028: D101002E 0001E52E
	v_add_f32_e64 v47, v47, 1.0                                // 000000004030: D101002F 0001E52F
	v_rcp_f32_e32 v44, v44                                     // 000000004038: 7E58452C
	v_rcp_f32_e32 v45, v45                                     // 00000000403C: 7E5A452D
	v_rcp_f32_e32 v46, v46                                     // 000000004040: 7E5C452E
	v_rcp_f32_e32 v47, v47                                     // 000000004044: 7E5E452F
	v_mul_f32_e32 v132, v132, v44                              // 000000004048: 0B085984
	v_mul_f32_e32 v133, v133, v45                              // 00000000404C: 0B0A5B85
	v_mul_f32_e32 v134, v134, v46                              // 000000004050: 0B0C5D86
	v_mul_f32_e32 v135, v135, v47                              // 000000004054: 0B0E5F87
	v_mul_f32_e32 v132, v132, v68                              // 000000004058: 0B088984
	v_mul_f32_e32 v133, v133, v69                              // 00000000405C: 0B0A8B85
	v_mul_f32_e32 v134, v134, v70                              // 000000004060: 0B0C8D86
	v_mul_f32_e32 v135, v135, v71                              // 000000004064: 0B0E8F87
	s_waitcnt vmcnt(4)                                         // 000000004068: BF8C0F74
	buffer_load_dwordx4 a[16:19], v34, s[12:15], 0 offen       // 00000000406C: E05C1000 80831022
	v_mul_f32_e64 v44, -v136, s6                               // 000000004074: D105002C 20000D88
	v_mul_f32_e64 v45, -v137, s6                               // 00000000407C: D105002D 20000D89
	v_mul_f32_e64 v46, -v138, s6                               // 000000004084: D105002E 20000D8A
	v_mul_f32_e64 v47, -v139, s6                               // 00000000408C: D105002F 20000D8B
	v_exp_f32_e32 v44, v44                                     // 000000004094: 7E58412C
	v_exp_f32_e32 v45, v45                                     // 000000004098: 7E5A412D
	v_exp_f32_e32 v46, v46                                     // 00000000409C: 7E5C412E
	v_exp_f32_e32 v47, v47                                     // 0000000040A0: 7E5E412F
	buffer_load_dwordx4 a[20:23], v35, s[12:15], 0 offen       // 0000000040A4: E05C1000 80831423
	v_add_f32_e64 v44, v44, 1.0                                // 0000000040AC: D101002C 0001E52C
	v_add_f32_e64 v45, v45, 1.0                                // 0000000040B4: D101002D 0001E52D
	v_add_f32_e64 v46, v46, 1.0                                // 0000000040BC: D101002E 0001E52E
	v_add_f32_e64 v47, v47, 1.0                                // 0000000040C4: D101002F 0001E52F
	v_rcp_f32_e32 v44, v44                                     // 0000000040CC: 7E58452C
	v_rcp_f32_e32 v45, v45                                     // 0000000040D0: 7E5A452D
	v_rcp_f32_e32 v46, v46                                     // 0000000040D4: 7E5C452E
	v_rcp_f32_e32 v47, v47                                     // 0000000040D8: 7E5E452F
	v_mul_f32_e32 v136, v136, v44                              // 0000000040DC: 0B105988
	v_mul_f32_e32 v137, v137, v45                              // 0000000040E0: 0B125B89
	v_mul_f32_e32 v138, v138, v46                              // 0000000040E4: 0B145D8A
	v_mul_f32_e32 v139, v139, v47                              // 0000000040E8: 0B165F8B
	v_mul_f32_e32 v136, v136, v72                              // 0000000040EC: 0B109188
	v_mul_f32_e32 v137, v137, v73                              // 0000000040F0: 0B129389
	v_mul_f32_e32 v138, v138, v74                              // 0000000040F4: 0B14958A
	v_mul_f32_e32 v139, v139, v75                              // 0000000040F8: 0B16978B
	buffer_load_dwordx4 a[24:27], v36, s[12:15], 0 offen       // 0000000040FC: E05C1000 80831824
	v_mul_f32_e64 v44, -v140, s6                               // 000000004104: D105002C 20000D8C
	v_mul_f32_e64 v45, -v141, s6                               // 00000000410C: D105002D 20000D8D
	v_mul_f32_e64 v46, -v142, s6                               // 000000004114: D105002E 20000D8E
	v_mul_f32_e64 v47, -v143, s6                               // 00000000411C: D105002F 20000D8F
	v_exp_f32_e32 v44, v44                                     // 000000004124: 7E58412C
	v_exp_f32_e32 v45, v45                                     // 000000004128: 7E5A412D
	v_exp_f32_e32 v46, v46                                     // 00000000412C: 7E5C412E
	v_exp_f32_e32 v47, v47                                     // 000000004130: 7E5E412F
	buffer_load_dwordx4 a[28:31], v37, s[12:15], 0 offen       // 000000004134: E05C1000 80831C25
	v_add_f32_e64 v44, v44, 1.0                                // 00000000413C: D101002C 0001E52C
	v_add_f32_e64 v45, v45, 1.0                                // 000000004144: D101002D 0001E52D
	v_add_f32_e64 v46, v46, 1.0                                // 00000000414C: D101002E 0001E52E
	v_add_f32_e64 v47, v47, 1.0                                // 000000004154: D101002F 0001E52F
	v_rcp_f32_e32 v44, v44                                     // 00000000415C: 7E58452C
	v_rcp_f32_e32 v45, v45                                     // 000000004160: 7E5A452D
	v_rcp_f32_e32 v46, v46                                     // 000000004164: 7E5C452E
	v_rcp_f32_e32 v47, v47                                     // 000000004168: 7E5E452F
	v_mul_f32_e32 v140, v140, v44                              // 00000000416C: 0B18598C
	v_mul_f32_e32 v141, v141, v45                              // 000000004170: 0B1A5B8D
	v_mul_f32_e32 v142, v142, v46                              // 000000004174: 0B1C5D8E
	v_mul_f32_e32 v143, v143, v47                              // 000000004178: 0B1E5F8F
	v_mul_f32_e32 v140, v140, v76                              // 00000000417C: 0B18998C
	v_mul_f32_e32 v141, v141, v77                              // 000000004180: 0B1A9B8D
	v_mul_f32_e32 v142, v142, v78                              // 000000004184: 0B1C9D8E
	v_mul_f32_e32 v143, v143, v79                              // 000000004188: 0B1E9F8F
	v_lshlrev_b32_e32 v44, 2, v0                               // 00000000418C: 24580082
	s_mul_i32 s60, s82, s71                                    // 000000004190: 923C4752
	v_add_u32_e64 v80, v44, s60                                // 000000004194: D1340050 0000792C
	v_mov_b32_e32 v81, 0                                       // 00000000419C: 7EA20280
	s_mul_i32 s60, s83, s71                                    // 0000000041A0: 923C4753
	v_add_u32_e64 v82, v44, s60                                // 0000000041A4: D1340052 0000792C
	v_mov_b32_e32 v83, 0                                       // 0000000041AC: 7EA60280
	s_mul_i32 s60, s84, s71                                    // 0000000041B0: 923C4754
	v_add_u32_e64 v84, v44, s60                                // 0000000041B4: D1340054 0000792C
	v_mov_b32_e32 v85, 0                                       // 0000000041BC: 7EAA0280
	s_mul_i32 s60, s85, s71                                    // 0000000041C0: 923C4755
	v_add_u32_e64 v86, v44, s60                                // 0000000041C4: D1340056 0000792C
	v_mov_b32_e32 v87, 0                                       // 0000000041CC: 7EAE0280
	s_mul_i32 s60, s86, s71                                    // 0000000041D0: 923C4756
	v_add_u32_e64 v88, v44, s60                                // 0000000041D4: D1340058 0000792C
	v_mov_b32_e32 v89, 0                                       // 0000000041DC: 7EB20280
	s_mul_i32 s60, s87, s71                                    // 0000000041E0: 923C4757
	v_add_u32_e64 v90, v44, s60                                // 0000000041E4: D134005A 0000792C
	v_mov_b32_e32 v91, 0                                       // 0000000041EC: 7EB60280
	s_mul_i32 s60, s88, s71                                    // 0000000041F0: 923C4758
	v_add_u32_e64 v92, v44, s60                                // 0000000041F4: D134005C 0000792C
	v_mov_b32_e32 v93, 0                                       // 0000000041FC: 7EBA0280
	s_mul_i32 s60, s89, s71                                    // 000000004200: 923C4759
	v_add_u32_e64 v94, v44, s60                                // 000000004204: D134005E 0000792C
	v_mov_b32_e32 v95, 0                                       // 00000000420C: 7EBE0280
	buffer_load_dword v11, v5, s[16:19], 0 offen               // 000000004210: E0501000 80040B05
	v_mov_b32_e32 v20, 0x358637bd                              // 000000004218: 7E2802FF 358637BD
	v_mov_b32_e32 v21, 0x358637bd                              // 000000004220: 7E2A02FF 358637BD
	v_max3_f32 v20, |v128|, |v129|, v20                        // 000000004228: D1D30314 04530380
	v_max3_f32 v20, |v130|, |v131|, v20                        // 000000004230: D1D30314 04530782
	v_max3_f32 v21, |v132|, |v133|, v21                        // 000000004238: D1D30315 04570B84
	v_max3_f32 v21, |v134|, |v135|, v21                        // 000000004240: D1D30315 04570F86
	v_max3_f32 v20, |v136|, |v137|, v20                        // 000000004248: D1D30314 04531388
	v_max3_f32 v20, |v138|, |v139|, v20                        // 000000004250: D1D30314 0453178A
	v_max3_f32 v21, |v140|, |v141|, v21                        // 000000004258: D1D30315 04571B8C
	v_max3_f32 v21, |v142|, |v143|, v21                        // 000000004260: D1D30315 04571F8E
	v_lshlrev_b32_e32 v44, 3, v0                               // 000000004268: 24580083
	s_mul_i32 s60, 0x200, s7                                   // 00000000426C: 923C07FF 00000200
	v_add_u32_e32 v44, s60, v44                                // 000000004274: 6858583C
	ds_write_b64 v44, v[20:21] offset:16640                    // 000000004278: D89A4100 0000142C
	s_waitcnt lgkmcnt(0)                                       // 000000004280: BF8CC07F
	s_barrier                                                  // 000000004284: BF8A0000
	v_and_b32_e32 v44, 15, v0                                  // 000000004288: 2658008F
	v_lshlrev_b32_e32 v44, 3, v44                              // 00000000428C: 24585883
	ds_read_b64 v[96:97], v44 offset:16640                     // 000000004290: D8EC4100 6000002C
	ds_read_b64 v[98:99], v44 offset:16768                     // 000000004298: D8EC4180 6200002C
	ds_read_b64 v[100:101], v44 offset:16896                   // 0000000042A0: D8EC4200 6400002C
	ds_read_b64 v[102:103], v44 offset:17024                   // 0000000042A8: D8EC4280 6600002C
	ds_read_b64 v[104:105], v44 offset:17152                   // 0000000042B0: D8EC4300 6800002C
	ds_read_b64 v[106:107], v44 offset:17280                   // 0000000042B8: D8EC4380 6A00002C
	ds_read_b64 v[108:109], v44 offset:17408                   // 0000000042C0: D8EC4400 6C00002C
	ds_read_b64 v[110:111], v44 offset:17536                   // 0000000042C8: D8EC4480 6E00002C
	ds_read_b64 v[112:113], v44 offset:17664                   // 0000000042D0: D8EC4500 7000002C
	ds_read_b64 v[114:115], v44 offset:17792                   // 0000000042D8: D8EC4580 7200002C
	ds_read_b64 v[116:117], v44 offset:17920                   // 0000000042E0: D8EC4600 7400002C
	ds_read_b64 v[118:119], v44 offset:18048                   // 0000000042E8: D8EC4680 7600002C
	ds_read_b64 v[120:121], v44 offset:18176                   // 0000000042F0: D8EC4700 7800002C
	ds_read_b64 v[122:123], v44 offset:18304                   // 0000000042F8: D8EC4780 7A00002C
	ds_read_b64 v[124:125], v44 offset:18432                   // 000000004300: D8EC4800 7C00002C
	ds_read_b64 v[126:127], v44 offset:18560                   // 000000004308: D8EC4880 7E00002C
	s_waitcnt lgkmcnt(0)                                       // 000000004310: BF8CC07F
	v_max3_f32 v20, |v96|, |v98|, v20                          // 000000004314: D1D30314 0452C560
	v_max3_f32 v21, |v97|, |v99|, v21                          // 00000000431C: D1D30315 0456C761
	v_max3_f32 v20, |v100|, |v102|, v20                        // 000000004324: D1D30314 0452CD64
	v_max3_f32 v21, |v101|, |v103|, v21                        // 00000000432C: D1D30315 0456CF65
	v_max3_f32 v20, |v104|, |v106|, v20                        // 000000004334: D1D30314 0452D568
	v_max3_f32 v21, |v105|, |v107|, v21                        // 00000000433C: D1D30315 0456D769
	v_max3_f32 v20, |v108|, |v110|, v20                        // 000000004344: D1D30314 0452DD6C
	v_max3_f32 v21, |v109|, |v111|, v21                        // 00000000434C: D1D30315 0456DF6D
	v_max3_f32 v20, |v112|, |v114|, v20                        // 000000004354: D1D30314 0452E570
	v_max3_f32 v21, |v113|, |v115|, v21                        // 00000000435C: D1D30315 0456E771
	v_max3_f32 v20, |v116|, |v118|, v20                        // 000000004364: D1D30314 0452ED74
	v_max3_f32 v21, |v117|, |v119|, v21                        // 00000000436C: D1D30315 0456EF75
	v_max3_f32 v20, |v120|, |v122|, v20                        // 000000004374: D1D30314 0452F578
	v_max3_f32 v21, |v121|, |v123|, v21                        // 00000000437C: D1D30315 0456F779
	v_max3_f32 v20, |v124|, |v126|, v20                        // 000000004384: D1D30314 0452FD7C
	v_max3_f32 v21, |v125|, |v127|, v21                        // 00000000438C: D1D30315 0456FF7D
	v_rcp_f32_e32 v20, v20                                     // 000000004394: 7E284514
	v_rcp_f32_e32 v21, v21                                     // 000000004398: 7E2A4515
	v_mov_b32_e32 v44, 0x43e00000                              // 00000000439C: 7E5802FF 43E00000
	v_mul_f32_e32 v20, v44, v20                                // 0000000043A4: 0A28292C
	v_mul_f32_e32 v21, v44, v21                                // 0000000043A8: 0A2A2B2C
	v_mul_f32_e32 v128, v20, v128                              // 0000000043AC: 0B010114
	v_mul_f32_e32 v129, v20, v129                              // 0000000043B0: 0B030314
	v_mul_f32_e32 v130, v20, v130                              // 0000000043B4: 0B050514
	v_mul_f32_e32 v131, v20, v131                              // 0000000043B8: 0B070714
	v_cvt_pk_fp8_f32 v128, v128, v129                          // 0000000043BC: D2A20080 00030380
	v_cvt_pk_fp8_f32 v128, v130, v131 op_sel:[0,0,1]           // 0000000043C4: D2A24080 00030782
	v_mul_f32_e32 v132, v21, v132                              // 0000000043CC: 0B090915
	v_mul_f32_e32 v133, v21, v133                              // 0000000043D0: 0B0B0B15
	v_mul_f32_e32 v134, v21, v134                              // 0000000043D4: 0B0D0D15
	v_mul_f32_e32 v135, v21, v135                              // 0000000043D8: 0B0F0F15
	v_cvt_pk_fp8_f32 v129, v132, v133                          // 0000000043DC: D2A20081 00030B84
	v_cvt_pk_fp8_f32 v129, v134, v135 op_sel:[0,0,1]           // 0000000043E4: D2A24081 00030F86
	v_mul_f32_e32 v136, v20, v136                              // 0000000043EC: 0B111114
	v_mul_f32_e32 v137, v20, v137                              // 0000000043F0: 0B131314
	v_mul_f32_e32 v138, v20, v138                              // 0000000043F4: 0B151514
	v_mul_f32_e32 v139, v20, v139                              // 0000000043F8: 0B171714
	v_cvt_pk_fp8_f32 v130, v136, v137                          // 0000000043FC: D2A20082 00031388
	v_cvt_pk_fp8_f32 v130, v138, v139 op_sel:[0,0,1]           // 000000004404: D2A24082 0003178A
	v_mul_f32_e32 v140, v21, v140                              // 00000000440C: 0B191915
	v_mul_f32_e32 v141, v21, v141                              // 000000004410: 0B1B1B15
	v_mul_f32_e32 v142, v21, v142                              // 000000004414: 0B1D1D15
	v_mul_f32_e32 v143, v21, v143                              // 000000004418: 0B1F1F15
	v_cvt_pk_fp8_f32 v131, v140, v141                          // 00000000441C: D2A20083 00031B8C
	v_cvt_pk_fp8_f32 v131, v142, v143 op_sel:[0,0,1]           // 000000004424: D2A24083 00031F8E
	v_rcp_f32_e32 v22, v20                                     // 00000000442C: 7E2C4514
	v_rcp_f32_e32 v23, v21                                     // 000000004430: 7E2E4515
	v_lshrrev_b32_e32 v44, 5, v0                               // 000000004434: 20580085
	v_lshlrev_b32_e32 v45, 5, v44                              // 000000004438: 245A5885
	v_and_b32_e32 v44, 31, v0                                  // 00000000443C: 2658009F
	v_lshrrev_b32_e32 v46, 4, v44                              // 000000004440: 205C5884
	v_add_u32_e32 v45, v46, v45                                // 000000004444: 685A5B2E
	v_and_b32_e32 v44, 15, v0                                  // 000000004448: 2658008F
	v_lshlrev_b32_e32 v44, 1, v44                              // 00000000444C: 24585881
	v_add_u32_e32 v45, v44, v45                                // 000000004450: 685A5B2C
	v_lshlrev_b32_e32 v44, 2, v45                              // 000000004454: 24585A82
	s_mul_i32 s60, 0x100, s7                                   // 000000004458: 923C07FF 00000100
	v_add_u32_e64 v44, v44, s60                                // 000000004460: D134002C 0000792C
	ds_write_b32 v44, v128 offset:18688                        // 000000004468: D81A4900 0000802C
	ds_write_b32 v44, v129 offset:20736                        // 000000004470: D81A5100 0000812C
	ds_write_b32 v44, v130 offset:19712                        // 000000004478: D81A4D00 0000822C
	ds_write_b32 v44, v131 offset:21760                        // 000000004480: D81A5500 0000832C
	s_waitcnt lgkmcnt(0)                                       // 000000004488: BF8CC07F
	s_barrier                                                  // 00000000448C: BF8A0000
	v_lshrrev_b32_e32 v44, 4, v0                               // 000000004490: 20580084
	v_lshlrev_b32_e32 v45, 6, v44                              // 000000004494: 245A5886
	v_and_b32_e32 v44, 15, v0                                  // 000000004498: 2658008F
	v_lshlrev_b32_e32 v44, 1, v44                              // 00000000449C: 24585881
	v_add_u32_e32 v45, v44, v45                                // 0000000044A0: 685A5B2C
	v_lshlrev_b32_e32 v44, 2, v45                              // 0000000044A4: 24585A82
	ds_read_b64 v[128:129], v44 offset:18688                   // 0000000044A8: D8EC4900 8000002C
	ds_read_b64 v[130:131], v44 offset:18816                   // 0000000044B0: D8EC4980 8200002C
	ds_read_b64 v[132:133], v44 offset:19712                   // 0000000044B8: D8EC4D00 8400002C
	ds_read_b64 v[134:135], v44 offset:19840                   // 0000000044C0: D8EC4D80 8600002C
	ds_read_b64 v[136:137], v44 offset:20736                   // 0000000044C8: D8EC5100 8800002C
	ds_read_b64 v[138:139], v44 offset:20864                   // 0000000044D0: D8EC5180 8A00002C
	ds_read_b64 v[140:141], v44 offset:21760                   // 0000000044D8: D8EC5500 8C00002C
	ds_read_b64 v[142:143], v44 offset:21888                   // 0000000044E0: D8EC5580 8E00002C
	s_add_u32 s12, s56, s12                                    // 0000000044E8: 800C0C38
	s_addc_u32 s13, 0, s13                                     // 0000000044EC: 820D0D80
	s_add_u32 s16, s79, s16                                    // 0000000044F0: 8010104F
	s_addc_u32 s17, 0, s17                                     // 0000000044F4: 82111180
	s_waitcnt lgkmcnt(0)                                       // 0000000044F8: BF8CC07F
	s_barrier                                                  // 0000000044FC: BF8A0000
	v_mov_b32_e32 v144, 0                                      // 000000004500: 7F200280
	v_mov_b32_e32 v176, 0                                      // 000000004504: 7F600280
	v_mov_b32_e32 v145, 0                                      // 000000004508: 7F220280
	v_mov_b32_e32 v177, 0                                      // 00000000450C: 7F620280
	v_mov_b32_e32 v146, 0                                      // 000000004510: 7F240280
	v_mov_b32_e32 v178, 0                                      // 000000004514: 7F640280
	v_mov_b32_e32 v147, 0                                      // 000000004518: 7F260280
	v_mov_b32_e32 v179, 0                                      // 00000000451C: 7F660280
	v_mov_b32_e32 v148, 0                                      // 000000004520: 7F280280
	v_mov_b32_e32 v180, 0                                      // 000000004524: 7F680280
	v_mov_b32_e32 v149, 0                                      // 000000004528: 7F2A0280
	v_mov_b32_e32 v181, 0                                      // 00000000452C: 7F6A0280
	v_mov_b32_e32 v150, 0                                      // 000000004530: 7F2C0280
	v_mov_b32_e32 v182, 0                                      // 000000004534: 7F6C0280
	v_mov_b32_e32 v151, 0                                      // 000000004538: 7F2E0280
	v_mov_b32_e32 v183, 0                                      // 00000000453C: 7F6E0280
	v_mov_b32_e32 v152, 0                                      // 000000004540: 7F300280
	v_mov_b32_e32 v184, 0                                      // 000000004544: 7F700280
	v_mov_b32_e32 v153, 0                                      // 000000004548: 7F320280
	v_mov_b32_e32 v185, 0                                      // 00000000454C: 7F720280
	v_mov_b32_e32 v154, 0                                      // 000000004550: 7F340280
	v_mov_b32_e32 v186, 0                                      // 000000004554: 7F740280
	v_mov_b32_e32 v155, 0                                      // 000000004558: 7F360280
	v_mov_b32_e32 v187, 0                                      // 00000000455C: 7F760280
	v_mov_b32_e32 v156, 0                                      // 000000004560: 7F380280
	v_mov_b32_e32 v188, 0                                      // 000000004564: 7F780280
	v_mov_b32_e32 v157, 0                                      // 000000004568: 7F3A0280
	v_mov_b32_e32 v189, 0                                      // 00000000456C: 7F7A0280
	v_mov_b32_e32 v158, 0                                      // 000000004570: 7F3C0280
	v_mov_b32_e32 v190, 0                                      // 000000004574: 7F7C0280
	v_mov_b32_e32 v159, 0                                      // 000000004578: 7F3E0280
	v_mov_b32_e32 v191, 0                                      // 00000000457C: 7F7E0280
	ds_write_b64 v3, v[144:145] offset:18688                   // 000000004580: D89A4900 00009003
	ds_write_b64 v3, v[146:147] offset:27392                   // 000000004588: D89A6B00 00009203
	ds_write_b64 v3, v[148:149] offset:20864                   // 000000004590: D89A5180 00009403
	ds_write_b64 v3, v[150:151] offset:29568                   // 000000004598: D89A7380 00009603
	ds_write_b64 v3, v[152:153] offset:23040                   // 0000000045A0: D89A5A00 00009803
	ds_write_b64 v3, v[154:155] offset:31744                   // 0000000045A8: D89A7C00 00009A03
	ds_write_b64 v3, v[156:157] offset:25216                   // 0000000045B0: D89A6280 00009C03
	ds_write_b64 v3, v[158:159] offset:33920                   // 0000000045B8: D89A8480 00009E03
	s_mov_b32 s80, 0                                           // 0000000045C0: BED00080
	s_waitcnt vmcnt(0) expcnt(0) lgkmcnt(0)                    // 0000000045C4: BF8C0000

00000000000045c8 <label_05F2>:
	s_waitcnt vmcnt(5) lgkmcnt(0)                              // 0000000045C8: BF8C0075
	s_barrier                                                  // 0000000045CC: BF8A0000
	v_mfma_f32_16x16x32_fp8_fp8 v[144:147], a[0:1], v[128:129], 0// 0000000045D0: D3F30090 0A030100
	ds_read_b32 v64, v4 offset:18688                           // 0000000045D8: D86C4900 40000004
	ds_read_b32 v65, v4 offset:23040                           // 0000000045E0: D86C5A00 41000004
	v_mfma_f32_16x16x32_fp8_fp8 v[144:147], a[2:3], v[130:131], v[144:147]// 0000000045E8: D3F30090 0E430502
	buffer_load_dwordx4 a[32:35], v34, s[12:15], 0 offen       // 0000000045F0: E05C1000 80832022
	v_mfma_f32_16x16x32_fp8_fp8 v[148:151], a[0:1], v[136:137], 0// 0000000045F8: D3F30094 0A031100
	ds_read_b32 v66, v4 offset:18720                           // 000000004600: D86C4920 42000004
	ds_read_b32 v67, v4 offset:23072                           // 000000004608: D86C5A20 43000004
	v_mfma_f32_16x16x32_fp8_fp8 v[148:151], a[2:3], v[138:139], v[148:151]// 000000004610: D3F30094 0E531502
	v_mfma_f32_16x16x32_fp8_fp8 v[152:155], a[4:5], v[128:129], 0// 000000004618: D3F30098 0A030104
	ds_read_b32 v68, v4 offset:18752                           // 000000004620: D86C4940 44000004
	ds_read_b32 v69, v4 offset:23104                           // 000000004628: D86C5A40 45000004
	v_mfma_f32_16x16x32_fp8_fp8 v[152:155], a[6:7], v[130:131], v[152:155]// 000000004630: D3F30098 0E630506
	buffer_load_dwordx4 a[36:39], v35, s[12:15], 0 offen       // 000000004638: E05C1000 80832423
	v_mfma_f32_16x16x32_fp8_fp8 v[156:159], a[4:5], v[136:137], 0// 000000004640: D3F3009C 0A031104
	ds_read_b32 v70, v4 offset:18784                           // 000000004648: D86C4960 46000004
	ds_read_b32 v71, v4 offset:23136                           // 000000004650: D86C5A60 47000004
	v_mfma_f32_16x16x32_fp8_fp8 v[156:159], a[6:7], v[138:139], v[156:159]// 000000004658: D3F3009C 0E731506
	v_mfma_f32_16x16x32_fp8_fp8 v[160:163], a[8:9], v[128:129], 0// 000000004660: D3F300A0 0A030108
	ds_read_b32 v72, v4 offset:27392                           // 000000004668: D86C6B00 48000004
	ds_read_b32 v73, v4 offset:31744                           // 000000004670: D86C7C00 49000004
	v_mfma_f32_16x16x32_fp8_fp8 v[160:163], a[10:11], v[130:131], v[160:163]// 000000004678: D3F300A0 0E83050A
	buffer_load_dwordx4 a[40:43], v36, s[12:15], 0 offen       // 000000004680: E05C1000 80832824
	v_mfma_f32_16x16x32_fp8_fp8 v[164:167], a[8:9], v[136:137], 0// 000000004688: D3F300A4 0A031108
	ds_read_b32 v74, v4 offset:27424                           // 000000004690: D86C6B20 4A000004
	ds_read_b32 v75, v4 offset:31776                           // 000000004698: D86C7C20 4B000004
	v_mfma_f32_16x16x32_fp8_fp8 v[164:167], a[10:11], v[138:139], v[164:167]// 0000000046A0: D3F300A4 0E93150A
	v_mfma_f32_16x16x32_fp8_fp8 v[168:171], a[12:13], v[128:129], 0// 0000000046A8: D3F300A8 0A03010C
	ds_read_b32 v76, v4 offset:27456                           // 0000000046B0: D86C6B40 4C000004
	ds_read_b32 v77, v4 offset:31808                           // 0000000046B8: D86C7C40 4D000004
	v_mfma_f32_16x16x32_fp8_fp8 v[168:171], a[14:15], v[130:131], v[168:171]// 0000000046C0: D3F300A8 0EA3050E
	buffer_load_dwordx4 a[44:47], v37, s[12:15], 0 offen       // 0000000046C8: E05C1000 80832C25
	s_add_u32 s12, s78, s12                                    // 0000000046D0: 800C0C4E
	s_addc_u32 s13, 0, s13                                     // 0000000046D4: 820D0D80
	v_mfma_f32_16x16x32_fp8_fp8 v[172:175], a[12:13], v[136:137], 0// 0000000046D8: D3F300AC 0A03110C
	ds_read_b32 v78, v4 offset:27488                           // 0000000046E0: D86C6B60 4E000004
	ds_read_b32 v79, v4 offset:31840                           // 0000000046E8: D86C7C60 4F000004
	v_mfma_f32_16x16x32_fp8_fp8 v[172:175], a[14:15], v[138:139], v[172:175]// 0000000046F0: D3F300AC 0EB3150E
	s_waitcnt vmcnt(4)                                         // 0000000046F8: BF8C0F74
	v_mfma_f32_16x16x32_fp8_fp8 v[144:147], a[16:17], v[132:133], v[144:147]// 0000000046FC: D3F30090 0E430910
	v_mfma_f32_16x16x32_fp8_fp8 v[144:147], a[18:19], v[134:135], v[144:147]// 000000004704: D3F30090 0E430D12
	buffer_load_dwordx4 a[48:51], v34, s[12:15], 0 offen       // 00000000470C: E05C1000 80833022
	v_mfma_f32_16x16x32_fp8_fp8 v[148:151], a[16:17], v[140:141], v[148:151]// 000000004714: D3F30094 0E531910
	v_mfma_f32_16x16x32_fp8_fp8 v[148:151], a[18:19], v[142:143], v[148:151]// 00000000471C: D3F30094 0E531D12
	buffer_load_dword v12, v5, s[16:19], 0 offen               // 000000004724: E0501000 80040C05
	v_mfma_f32_16x16x32_fp8_fp8 v[152:155], a[20:21], v[132:133], v[152:155]// 00000000472C: D3F30098 0E630914
	v_mfma_f32_16x16x32_fp8_fp8 v[152:155], a[22:23], v[134:135], v[152:155]// 000000004734: D3F30098 0E630D16
	buffer_load_dwordx4 a[52:55], v35, s[12:15], 0 offen       // 00000000473C: E05C1000 80833423
	v_mfma_f32_16x16x32_fp8_fp8 v[156:159], a[20:21], v[140:141], v[156:159]// 000000004744: D3F3009C 0E731914
	v_mfma_f32_16x16x32_fp8_fp8 v[156:159], a[22:23], v[142:143], v[156:159]// 00000000474C: D3F3009C 0E731D16
	v_mfma_f32_16x16x32_fp8_fp8 v[160:163], a[24:25], v[132:133], v[160:163]// 000000004754: D3F300A0 0E830918
	v_mfma_f32_16x16x32_fp8_fp8 v[160:163], a[26:27], v[134:135], v[160:163]// 00000000475C: D3F300A0 0E830D1A
	buffer_load_dwordx4 a[56:59], v36, s[12:15], 0 offen       // 000000004764: E05C1000 80833824
	v_mfma_f32_16x16x32_fp8_fp8 v[164:167], a[24:25], v[140:141], v[164:167]// 00000000476C: D3F300A4 0E931918
	v_mfma_f32_16x16x32_fp8_fp8 v[164:167], a[26:27], v[142:143], v[164:167]// 000000004774: D3F300A4 0E931D1A
	v_mfma_f32_16x16x32_fp8_fp8 v[168:171], a[28:29], v[132:133], v[168:171]// 00000000477C: D3F300A8 0EA3091C
	v_mfma_f32_16x16x32_fp8_fp8 v[168:171], a[30:31], v[134:135], v[168:171]// 000000004784: D3F300A8 0EA30D1E
	buffer_load_dwordx4 a[60:63], v37, s[12:15], 0 offen       // 00000000478C: E05C1000 80833C25
	v_mfma_f32_16x16x32_fp8_fp8 v[172:175], a[28:29], v[140:141], v[172:175]// 000000004794: D3F300AC 0EB3191C
	v_mfma_f32_16x16x32_fp8_fp8 v[172:175], a[30:31], v[142:143], v[172:175]// 00000000479C: D3F300AC 0EB31D1E
	s_add_u32 s60, 0x200, s80                                  // 0000000047A4: 803C50FF 00000200
	s_cmp_lt_u32 s60, s81                                      // 0000000047AC: BF0A513C
	s_cselect_b32 s56, s56, 0                                  // 0000000047B0: 85388038
	s_cselect_b32 s78, s78, 0                                  // 0000000047B4: 854E804E
	s_cselect_b32 s79, s79, 0                                  // 0000000047B8: 854F804F
	s_add_u32 s12, s56, s12                                    // 0000000047BC: 800C0C38
	s_addc_u32 s13, 0, s13                                     // 0000000047C0: 820D0D80
	s_add_u32 s16, s79, s16                                    // 0000000047C4: 8010104F
	s_addc_u32 s17, 0, s17                                     // 0000000047C8: 82111180
	v_mul_f32_e32 v144, v22, v144                              // 0000000047CC: 0B212116
	v_mul_f32_e32 v145, v22, v145                              // 0000000047D0: 0B232316
	v_mul_f32_e32 v146, v22, v146                              // 0000000047D4: 0B252516
	v_mul_f32_e32 v147, v22, v147                              // 0000000047D8: 0B272716
	v_mul_f32_dpp v144, v11, v144 row_newbcast:0 row_mask:0xf bank_mask:0xf// 0000000047DC: 0B2120FA FF01500B
	v_mul_f32_dpp v145, v11, v145 row_newbcast:1 row_mask:0xf bank_mask:0xf// 0000000047E4: 0B2322FA FF01510B
	v_mul_f32_dpp v146, v11, v146 row_newbcast:2 row_mask:0xf bank_mask:0xf// 0000000047EC: 0B2524FA FF01520B
	v_mul_f32_dpp v147, v11, v147 row_newbcast:3 row_mask:0xf bank_mask:0xf// 0000000047F4: 0B2726FA FF01530B
	v_mul_f32_e32 v144, v17, v144                              // 0000000047FC: 0B212111
	v_mul_f32_e32 v145, v17, v145                              // 000000004800: 0B232311
	v_mul_f32_e32 v146, v17, v146                              // 000000004804: 0B252511
	v_mul_f32_e32 v147, v17, v147                              // 000000004808: 0B272711
	v_mul_f32_e32 v148, v23, v148                              // 00000000480C: 0B292917
	v_mul_f32_e32 v149, v23, v149                              // 000000004810: 0B2B2B17
	v_mul_f32_e32 v150, v23, v150                              // 000000004814: 0B2D2D17
	v_mul_f32_e32 v151, v23, v151                              // 000000004818: 0B2F2F17
	v_mul_f32_dpp v148, v11, v148 row_newbcast:0 row_mask:0xf bank_mask:0xf// 00000000481C: 0B2928FA FF01500B
	v_mul_f32_dpp v149, v11, v149 row_newbcast:1 row_mask:0xf bank_mask:0xf// 000000004824: 0B2B2AFA FF01510B
	v_mul_f32_dpp v150, v11, v150 row_newbcast:2 row_mask:0xf bank_mask:0xf// 00000000482C: 0B2D2CFA FF01520B
	v_mul_f32_dpp v151, v11, v151 row_newbcast:3 row_mask:0xf bank_mask:0xf// 000000004834: 0B2F2EFA FF01530B
	v_mul_f32_e32 v148, v18, v148                              // 00000000483C: 0B292912
	v_mul_f32_e32 v149, v18, v149                              // 000000004840: 0B2B2B12
	v_mul_f32_e32 v150, v18, v150                              // 000000004844: 0B2D2D12
	v_mul_f32_e32 v151, v18, v151                              // 000000004848: 0B2F2F12
	v_mul_f32_e32 v152, v22, v152                              // 00000000484C: 0B313116
	v_mul_f32_e32 v153, v22, v153                              // 000000004850: 0B333316
	v_mul_f32_e32 v154, v22, v154                              // 000000004854: 0B353516
	v_mul_f32_e32 v155, v22, v155                              // 000000004858: 0B373716
	v_mul_f32_dpp v152, v11, v152 row_newbcast:4 row_mask:0xf bank_mask:0xf// 00000000485C: 0B3130FA FF01540B
	v_mul_f32_dpp v153, v11, v153 row_newbcast:5 row_mask:0xf bank_mask:0xf// 000000004864: 0B3332FA FF01550B
	v_mul_f32_dpp v154, v11, v154 row_newbcast:6 row_mask:0xf bank_mask:0xf// 00000000486C: 0B3534FA FF01560B
	v_mul_f32_dpp v155, v11, v155 row_newbcast:7 row_mask:0xf bank_mask:0xf// 000000004874: 0B3736FA FF01570B
	v_mul_f32_e32 v152, v17, v152                              // 00000000487C: 0B313111
	v_mul_f32_e32 v153, v17, v153                              // 000000004880: 0B333311
	v_mul_f32_e32 v154, v17, v154                              // 000000004884: 0B353511
	v_mul_f32_e32 v155, v17, v155                              // 000000004888: 0B373711
	v_mul_f32_e32 v156, v23, v156                              // 00000000488C: 0B393917
	v_mul_f32_e32 v157, v23, v157                              // 000000004890: 0B3B3B17
	v_mul_f32_e32 v158, v23, v158                              // 000000004894: 0B3D3D17
	v_mul_f32_e32 v159, v23, v159                              // 000000004898: 0B3F3F17
	v_mul_f32_dpp v156, v11, v156 row_newbcast:4 row_mask:0xf bank_mask:0xf// 00000000489C: 0B3938FA FF01540B
	v_mul_f32_dpp v157, v11, v157 row_newbcast:5 row_mask:0xf bank_mask:0xf// 0000000048A4: 0B3B3AFA FF01550B
	v_mul_f32_dpp v158, v11, v158 row_newbcast:6 row_mask:0xf bank_mask:0xf// 0000000048AC: 0B3D3CFA FF01560B
	v_mul_f32_dpp v159, v11, v159 row_newbcast:7 row_mask:0xf bank_mask:0xf// 0000000048B4: 0B3F3EFA FF01570B
	v_mul_f32_e32 v156, v18, v156                              // 0000000048BC: 0B393912
	v_mul_f32_e32 v157, v18, v157                              // 0000000048C0: 0B3B3B12
	v_mul_f32_e32 v158, v18, v158                              // 0000000048C4: 0B3D3D12
	v_mul_f32_e32 v159, v18, v159                              // 0000000048C8: 0B3F3F12
	v_mul_f32_e32 v160, v22, v160                              // 0000000048CC: 0B414116
	v_mul_f32_e32 v161, v22, v161                              // 0000000048D0: 0B434316
	v_mul_f32_e32 v162, v22, v162                              // 0000000048D4: 0B454516
	v_mul_f32_e32 v163, v22, v163                              // 0000000048D8: 0B474716
	v_mul_f32_dpp v160, v11, v160 row_newbcast:8 row_mask:0xf bank_mask:0xf// 0000000048DC: 0B4140FA FF01580B
	v_mul_f32_dpp v161, v11, v161 row_newbcast:9 row_mask:0xf bank_mask:0xf// 0000000048E4: 0B4342FA FF01590B
	v_mul_f32_dpp v162, v11, v162 row_newbcast:10 row_mask:0xf bank_mask:0xf// 0000000048EC: 0B4544FA FF015A0B
	v_mul_f32_dpp v163, v11, v163 row_newbcast:11 row_mask:0xf bank_mask:0xf// 0000000048F4: 0B4746FA FF015B0B
	v_mul_f32_e32 v160, v17, v160                              // 0000000048FC: 0B414111
	v_mul_f32_e32 v161, v17, v161                              // 000000004900: 0B434311
	v_mul_f32_e32 v162, v17, v162                              // 000000004904: 0B454511
	v_mul_f32_e32 v163, v17, v163                              // 000000004908: 0B474711
	v_mul_f32_e32 v164, v23, v164                              // 00000000490C: 0B494917
	v_mul_f32_e32 v165, v23, v165                              // 000000004910: 0B4B4B17
	v_mul_f32_e32 v166, v23, v166                              // 000000004914: 0B4D4D17
	v_mul_f32_e32 v167, v23, v167                              // 000000004918: 0B4F4F17
	v_mul_f32_dpp v164, v11, v164 row_newbcast:8 row_mask:0xf bank_mask:0xf// 00000000491C: 0B4948FA FF01580B
	v_mul_f32_dpp v165, v11, v165 row_newbcast:9 row_mask:0xf bank_mask:0xf// 000000004924: 0B4B4AFA FF01590B
	v_mul_f32_dpp v166, v11, v166 row_newbcast:10 row_mask:0xf bank_mask:0xf// 00000000492C: 0B4D4CFA FF015A0B
	v_mul_f32_dpp v167, v11, v167 row_newbcast:11 row_mask:0xf bank_mask:0xf// 000000004934: 0B4F4EFA FF015B0B
	v_mul_f32_e32 v164, v18, v164                              // 00000000493C: 0B494912
	v_mul_f32_e32 v165, v18, v165                              // 000000004940: 0B4B4B12
	v_mul_f32_e32 v166, v18, v166                              // 000000004944: 0B4D4D12
	v_mul_f32_e32 v167, v18, v167                              // 000000004948: 0B4F4F12
	v_mul_f32_e32 v168, v22, v168                              // 00000000494C: 0B515116
	v_mul_f32_e32 v169, v22, v169                              // 000000004950: 0B535316
	v_mul_f32_e32 v170, v22, v170                              // 000000004954: 0B555516
	v_mul_f32_e32 v171, v22, v171                              // 000000004958: 0B575716
	v_mul_f32_dpp v168, v11, v168 row_newbcast:12 row_mask:0xf bank_mask:0xf// 00000000495C: 0B5150FA FF015C0B
	v_mul_f32_dpp v169, v11, v169 row_newbcast:13 row_mask:0xf bank_mask:0xf// 000000004964: 0B5352FA FF015D0B
	v_mul_f32_dpp v170, v11, v170 row_newbcast:14 row_mask:0xf bank_mask:0xf// 00000000496C: 0B5554FA FF015E0B
	v_mul_f32_dpp v171, v11, v171 row_newbcast:15 row_mask:0xf bank_mask:0xf// 000000004974: 0B5756FA FF015F0B
	v_mul_f32_e32 v168, v17, v168                              // 00000000497C: 0B515111
	v_mul_f32_e32 v169, v17, v169                              // 000000004980: 0B535311
	v_mul_f32_e32 v170, v17, v170                              // 000000004984: 0B555511
	v_mul_f32_e32 v171, v17, v171                              // 000000004988: 0B575711
	v_mul_f32_e32 v172, v23, v172                              // 00000000498C: 0B595917
	v_mul_f32_e32 v173, v23, v173                              // 000000004990: 0B5B5B17
	v_mul_f32_e32 v174, v23, v174                              // 000000004994: 0B5D5D17
	v_mul_f32_e32 v175, v23, v175                              // 000000004998: 0B5F5F17
	v_mul_f32_dpp v172, v11, v172 row_newbcast:12 row_mask:0xf bank_mask:0xf// 00000000499C: 0B5958FA FF015C0B
	v_mul_f32_dpp v173, v11, v173 row_newbcast:13 row_mask:0xf bank_mask:0xf// 0000000049A4: 0B5B5AFA FF015D0B
	v_mul_f32_dpp v174, v11, v174 row_newbcast:14 row_mask:0xf bank_mask:0xf// 0000000049AC: 0B5D5CFA FF015E0B
	v_mul_f32_dpp v175, v11, v175 row_newbcast:15 row_mask:0xf bank_mask:0xf// 0000000049B4: 0B5F5EFA FF015F0B
	v_mul_f32_e32 v172, v18, v172                              // 0000000049BC: 0B595912
	v_mul_f32_e32 v173, v18, v173                              // 0000000049C0: 0B5B5B12
	v_mul_f32_e32 v174, v18, v174                              // 0000000049C4: 0B5D5D12
	v_mul_f32_e32 v175, v18, v175                              // 0000000049C8: 0B5F5F12
	v_cmp_u_f32_e64 s[48:49], v144, v144                       // 0000000049CC: D0480030 00032190
	v_add3_u32 v38, v144, v41, 1                               // 0000000049D4: D1FF0026 02065390
	v_cndmask_b32_e64 v44, v38, v40, s[48:49]                  // 0000000049DC: D100002C 00C25126
	v_cmp_u_f32_e64 s[48:49], v145, v145                       // 0000000049E4: D0480030 00032391
	v_add3_u32 v38, v145, v41, 1                               // 0000000049EC: D1FF0026 02065391
	v_cndmask_b32_e64 v45, v38, v40, s[48:49]                  // 0000000049F4: D100002D 00C25126
	v_perm_b32 v144, v45, v44, s52                             // 0000000049FC: D1ED0090 00D2592D
	v_cmp_u_f32_e64 s[48:49], v146, v146                       // 000000004A04: D0480030 00032592
	v_add3_u32 v38, v146, v41, 1                               // 000000004A0C: D1FF0026 02065392
	v_cndmask_b32_e64 v44, v38, v40, s[48:49]                  // 000000004A14: D100002C 00C25126
	v_cmp_u_f32_e64 s[48:49], v147, v147                       // 000000004A1C: D0480030 00032793
	v_add3_u32 v38, v147, v41, 1                               // 000000004A24: D1FF0026 02065393
	v_cndmask_b32_e64 v45, v38, v40, s[48:49]                  // 000000004A2C: D100002D 00C25126
	v_perm_b32 v145, v45, v44, s52                             // 000000004A34: D1ED0091 00D2592D
	v_cmp_u_f32_e64 s[48:49], v148, v148                       // 000000004A3C: D0480030 00032994
	v_add3_u32 v38, v148, v41, 1                               // 000000004A44: D1FF0026 02065394
	v_cndmask_b32_e64 v44, v38, v40, s[48:49]                  // 000000004A4C: D100002C 00C25126
	v_cmp_u_f32_e64 s[48:49], v149, v149                       // 000000004A54: D0480030 00032B95
	v_add3_u32 v38, v149, v41, 1                               // 000000004A5C: D1FF0026 02065395
	v_cndmask_b32_e64 v45, v38, v40, s[48:49]                  // 000000004A64: D100002D 00C25126
	v_perm_b32 v146, v45, v44, s52                             // 000000004A6C: D1ED0092 00D2592D
	v_cmp_u_f32_e64 s[48:49], v150, v150                       // 000000004A74: D0480030 00032D96
	v_add3_u32 v38, v150, v41, 1                               // 000000004A7C: D1FF0026 02065396
	v_cndmask_b32_e64 v44, v38, v40, s[48:49]                  // 000000004A84: D100002C 00C25126
	v_cmp_u_f32_e64 s[48:49], v151, v151                       // 000000004A8C: D0480030 00032F97
	v_add3_u32 v38, v151, v41, 1                               // 000000004A94: D1FF0026 02065397
	v_cndmask_b32_e64 v45, v38, v40, s[48:49]                  // 000000004A9C: D100002D 00C25126
	v_perm_b32 v147, v45, v44, s52                             // 000000004AA4: D1ED0093 00D2592D
	v_cmp_u_f32_e64 s[48:49], v152, v152                       // 000000004AAC: D0480030 00033198
	v_add3_u32 v38, v152, v41, 1                               // 000000004AB4: D1FF0026 02065398
	v_cndmask_b32_e64 v44, v38, v40, s[48:49]                  // 000000004ABC: D100002C 00C25126
	v_cmp_u_f32_e64 s[48:49], v153, v153                       // 000000004AC4: D0480030 00033399
	v_add3_u32 v38, v153, v41, 1                               // 000000004ACC: D1FF0026 02065399
	v_cndmask_b32_e64 v45, v38, v40, s[48:49]                  // 000000004AD4: D100002D 00C25126
	v_perm_b32 v148, v45, v44, s52                             // 000000004ADC: D1ED0094 00D2592D
	v_cmp_u_f32_e64 s[48:49], v154, v154                       // 000000004AE4: D0480030 0003359A
	v_add3_u32 v38, v154, v41, 1                               // 000000004AEC: D1FF0026 0206539A
	v_cndmask_b32_e64 v44, v38, v40, s[48:49]                  // 000000004AF4: D100002C 00C25126
	v_cmp_u_f32_e64 s[48:49], v155, v155                       // 000000004AFC: D0480030 0003379B
	v_add3_u32 v38, v155, v41, 1                               // 000000004B04: D1FF0026 0206539B
	v_cndmask_b32_e64 v45, v38, v40, s[48:49]                  // 000000004B0C: D100002D 00C25126
	v_perm_b32 v149, v45, v44, s52                             // 000000004B14: D1ED0095 00D2592D
	v_cmp_u_f32_e64 s[48:49], v156, v156                       // 000000004B1C: D0480030 0003399C
	v_add3_u32 v38, v156, v41, 1                               // 000000004B24: D1FF0026 0206539C
	v_cndmask_b32_e64 v44, v38, v40, s[48:49]                  // 000000004B2C: D100002C 00C25126
	v_cmp_u_f32_e64 s[48:49], v157, v157                       // 000000004B34: D0480030 00033B9D
	v_add3_u32 v38, v157, v41, 1                               // 000000004B3C: D1FF0026 0206539D
	v_cndmask_b32_e64 v45, v38, v40, s[48:49]                  // 000000004B44: D100002D 00C25126
	v_perm_b32 v150, v45, v44, s52                             // 000000004B4C: D1ED0096 00D2592D
	v_cmp_u_f32_e64 s[48:49], v158, v158                       // 000000004B54: D0480030 00033D9E
	v_add3_u32 v38, v158, v41, 1                               // 000000004B5C: D1FF0026 0206539E
	v_cndmask_b32_e64 v44, v38, v40, s[48:49]                  // 000000004B64: D100002C 00C25126
	v_cmp_u_f32_e64 s[48:49], v159, v159                       // 000000004B6C: D0480030 00033F9F
	v_add3_u32 v38, v159, v41, 1                               // 000000004B74: D1FF0026 0206539F
	v_cndmask_b32_e64 v45, v38, v40, s[48:49]                  // 000000004B7C: D100002D 00C25126
	v_perm_b32 v151, v45, v44, s52                             // 000000004B84: D1ED0097 00D2592D
	v_cmp_u_f32_e64 s[48:49], v160, v160                       // 000000004B8C: D0480030 000341A0
	v_add3_u32 v38, v160, v41, 1                               // 000000004B94: D1FF0026 020653A0
	v_cndmask_b32_e64 v44, v38, v40, s[48:49]                  // 000000004B9C: D100002C 00C25126
	v_cmp_u_f32_e64 s[48:49], v161, v161                       // 000000004BA4: D0480030 000343A1
	v_add3_u32 v38, v161, v41, 1                               // 000000004BAC: D1FF0026 020653A1
	v_cndmask_b32_e64 v45, v38, v40, s[48:49]                  // 000000004BB4: D100002D 00C25126
	v_perm_b32 v152, v45, v44, s52                             // 000000004BBC: D1ED0098 00D2592D
	v_cmp_u_f32_e64 s[48:49], v162, v162                       // 000000004BC4: D0480030 000345A2
	v_add3_u32 v38, v162, v41, 1                               // 000000004BCC: D1FF0026 020653A2
	v_cndmask_b32_e64 v44, v38, v40, s[48:49]                  // 000000004BD4: D100002C 00C25126
	v_cmp_u_f32_e64 s[48:49], v163, v163                       // 000000004BDC: D0480030 000347A3
	v_add3_u32 v38, v163, v41, 1                               // 000000004BE4: D1FF0026 020653A3
	v_cndmask_b32_e64 v45, v38, v40, s[48:49]                  // 000000004BEC: D100002D 00C25126
	v_perm_b32 v153, v45, v44, s52                             // 000000004BF4: D1ED0099 00D2592D
	v_cmp_u_f32_e64 s[48:49], v164, v164                       // 000000004BFC: D0480030 000349A4
	v_add3_u32 v38, v164, v41, 1                               // 000000004C04: D1FF0026 020653A4
	v_cndmask_b32_e64 v44, v38, v40, s[48:49]                  // 000000004C0C: D100002C 00C25126
	v_cmp_u_f32_e64 s[48:49], v165, v165                       // 000000004C14: D0480030 00034BA5
	v_add3_u32 v38, v165, v41, 1                               // 000000004C1C: D1FF0026 020653A5
	v_cndmask_b32_e64 v45, v38, v40, s[48:49]                  // 000000004C24: D100002D 00C25126
	v_perm_b32 v154, v45, v44, s52                             // 000000004C2C: D1ED009A 00D2592D
	v_cmp_u_f32_e64 s[48:49], v166, v166                       // 000000004C34: D0480030 00034DA6
	v_add3_u32 v38, v166, v41, 1                               // 000000004C3C: D1FF0026 020653A6
	v_cndmask_b32_e64 v44, v38, v40, s[48:49]                  // 000000004C44: D100002C 00C25126
	v_cmp_u_f32_e64 s[48:49], v167, v167                       // 000000004C4C: D0480030 00034FA7
	v_add3_u32 v38, v167, v41, 1                               // 000000004C54: D1FF0026 020653A7
	v_cndmask_b32_e64 v45, v38, v40, s[48:49]                  // 000000004C5C: D100002D 00C25126
	v_perm_b32 v155, v45, v44, s52                             // 000000004C64: D1ED009B 00D2592D
	v_cmp_u_f32_e64 s[48:49], v168, v168                       // 000000004C6C: D0480030 000351A8
	v_add3_u32 v38, v168, v41, 1                               // 000000004C74: D1FF0026 020653A8
	v_cndmask_b32_e64 v44, v38, v40, s[48:49]                  // 000000004C7C: D100002C 00C25126
	v_cmp_u_f32_e64 s[48:49], v169, v169                       // 000000004C84: D0480030 000353A9
	v_add3_u32 v38, v169, v41, 1                               // 000000004C8C: D1FF0026 020653A9
	v_cndmask_b32_e64 v45, v38, v40, s[48:49]                  // 000000004C94: D100002D 00C25126
	v_perm_b32 v156, v45, v44, s52                             // 000000004C9C: D1ED009C 00D2592D
	v_cmp_u_f32_e64 s[48:49], v170, v170                       // 000000004CA4: D0480030 000355AA
	v_add3_u32 v38, v170, v41, 1                               // 000000004CAC: D1FF0026 020653AA
	v_cndmask_b32_e64 v44, v38, v40, s[48:49]                  // 000000004CB4: D100002C 00C25126
	v_cmp_u_f32_e64 s[48:49], v171, v171                       // 000000004CBC: D0480030 000357AB
	v_add3_u32 v38, v171, v41, 1                               // 000000004CC4: D1FF0026 020653AB
	v_cndmask_b32_e64 v45, v38, v40, s[48:49]                  // 000000004CCC: D100002D 00C25126
	v_perm_b32 v157, v45, v44, s52                             // 000000004CD4: D1ED009D 00D2592D
	v_cmp_u_f32_e64 s[48:49], v172, v172                       // 000000004CDC: D0480030 000359AC
	v_add3_u32 v38, v172, v41, 1                               // 000000004CE4: D1FF0026 020653AC
	v_cndmask_b32_e64 v44, v38, v40, s[48:49]                  // 000000004CEC: D100002C 00C25126
	v_cmp_u_f32_e64 s[48:49], v173, v173                       // 000000004CF4: D0480030 00035BAD
	v_add3_u32 v38, v173, v41, 1                               // 000000004CFC: D1FF0026 020653AD
	v_cndmask_b32_e64 v45, v38, v40, s[48:49]                  // 000000004D04: D100002D 00C25126
	v_perm_b32 v158, v45, v44, s52                             // 000000004D0C: D1ED009E 00D2592D
	v_cmp_u_f32_e64 s[48:49], v174, v174                       // 000000004D14: D0480030 00035DAE
	v_add3_u32 v38, v174, v41, 1                               // 000000004D1C: D1FF0026 020653AE
	v_cndmask_b32_e64 v44, v38, v40, s[48:49]                  // 000000004D24: D100002C 00C25126
	v_cmp_u_f32_e64 s[48:49], v175, v175                       // 000000004D2C: D0480030 00035FAF
	v_add3_u32 v38, v175, v41, 1                               // 000000004D34: D1FF0026 020653AF
	v_cndmask_b32_e64 v45, v38, v40, s[48:49]                  // 000000004D3C: D100002D 00C25126
	v_perm_b32 v159, v45, v44, s52                             // 000000004D44: D1ED009F 00D2592D
	s_cmp_ge_u32 s80, 0x200                                    // 000000004D4C: BF09FF50 00000200
	s_cselect_b32 s59, 0x200, s59                              // 000000004D54: 853B3BFF 00000200
	s_setvskip s20, 0                                          // 000000004D5C: BF108014
	global_atomic_pk_add_bf16 v80, v64, s[8:9]                 // 000000004D60: DD488000 00084050
	s_setvskip 0, 0                                            // 000000004D68: BF108080
	s_setvskip s20, 0                                          // 000000004D6C: BF108014
	global_atomic_pk_add_bf16 v80, v65, s[8:9] offset:256      // 000000004D70: DD488100 00084150
	s_setvskip 0, 0                                            // 000000004D78: BF108080
	s_setvskip s20, 1                                          // 000000004D7C: BF108114
	global_atomic_pk_add_bf16 v82, v66, s[8:9]                 // 000000004D80: DD488000 00084252
	s_setvskip 0, 0                                            // 000000004D88: BF108080
	s_setvskip s20, 1                                          // 000000004D8C: BF108114
	global_atomic_pk_add_bf16 v82, v67, s[8:9] offset:256      // 000000004D90: DD488100 00084352
	s_setvskip 0, 0                                            // 000000004D98: BF108080
	s_setvskip s20, 2                                          // 000000004D9C: BF108214
	global_atomic_pk_add_bf16 v84, v68, s[8:9]                 // 000000004DA0: DD488000 00084454
	s_setvskip 0, 0                                            // 000000004DA8: BF108080
	s_setvskip s20, 2                                          // 000000004DAC: BF108214
	global_atomic_pk_add_bf16 v84, v69, s[8:9] offset:256      // 000000004DB0: DD488100 00084554
	s_setvskip 0, 0                                            // 000000004DB8: BF108080
	s_setvskip s20, 3                                          // 000000004DBC: BF108314
	global_atomic_pk_add_bf16 v86, v70, s[8:9]                 // 000000004DC0: DD488000 00084656
	s_setvskip 0, 0                                            // 000000004DC8: BF108080
	s_setvskip s20, 3                                          // 000000004DCC: BF108314
	global_atomic_pk_add_bf16 v86, v71, s[8:9] offset:256      // 000000004DD0: DD488100 00084756
	s_setvskip 0, 0                                            // 000000004DD8: BF108080
	s_setvskip s20, 4                                          // 000000004DDC: BF108414
	global_atomic_pk_add_bf16 v88, v72, s[8:9]                 // 000000004DE0: DD488000 00084858
	s_setvskip 0, 0                                            // 000000004DE8: BF108080
	s_setvskip s20, 4                                          // 000000004DEC: BF108414
	global_atomic_pk_add_bf16 v88, v73, s[8:9] offset:256      // 000000004DF0: DD488100 00084958
	s_setvskip 0, 0                                            // 000000004DF8: BF108080
	s_setvskip s20, 5                                          // 000000004DFC: BF108514
	global_atomic_pk_add_bf16 v90, v74, s[8:9]                 // 000000004E00: DD488000 00084A5A
	s_setvskip 0, 0                                            // 000000004E08: BF108080
	s_setvskip s20, 5                                          // 000000004E0C: BF108514
	global_atomic_pk_add_bf16 v90, v75, s[8:9] offset:256      // 000000004E10: DD488100 00084B5A
	s_setvskip 0, 0                                            // 000000004E18: BF108080
	s_setvskip s20, 6                                          // 000000004E1C: BF108614
	global_atomic_pk_add_bf16 v92, v76, s[8:9]                 // 000000004E20: DD488000 00084C5C
	s_setvskip 0, 0                                            // 000000004E28: BF108080
	s_setvskip s20, 6                                          // 000000004E2C: BF108614
	global_atomic_pk_add_bf16 v92, v77, s[8:9] offset:256      // 000000004E30: DD488100 00084D5C
	s_setvskip 0, 0                                            // 000000004E38: BF108080
	s_setvskip s20, 7                                          // 000000004E3C: BF108714
	global_atomic_pk_add_bf16 v94, v78, s[8:9]                 // 000000004E40: DD488000 00084E5E
	s_setvskip 0, 0                                            // 000000004E48: BF108080
	s_setvskip s20, 7                                          // 000000004E4C: BF108714
	global_atomic_pk_add_bf16 v94, v79, s[8:9] offset:256      // 000000004E50: DD488100 00084F5E
	s_setvskip 0, 0                                            // 000000004E58: BF108080
	s_add_u32 s8, s59, s8                                      // 000000004E5C: 8008083B
	s_addc_u32 s9, 0, s9                                       // 000000004E60: 82090980
	s_addk_i32 s80, 0x100                                      // 000000004E64: B7500100
	s_cmp_lt_i32 s80, s81                                      // 000000004E68: BF045150
	s_cbranch_scc0 label_0A47                                  // 000000004E6C: BF84022B
	s_waitcnt vmcnt(5) lgkmcnt(0)                              // 000000004E70: BF8C0075
	s_barrier                                                  // 000000004E74: BF8A0000
	v_mfma_f32_16x16x32_fp8_fp8 v[176:179], a[32:33], v[128:129], 0// 000000004E78: D3F300B0 0A030120
	ds_read_b32 v64, v4 offset:36096                           // 000000004E80: D86C8D00 40000004
	ds_read_b32 v65, v4 offset:40448                           // 000000004E88: D86C9E00 41000004
	v_mfma_f32_16x16x32_fp8_fp8 v[176:179], a[34:35], v[130:131], v[176:179]// 000000004E90: D3F300B0 0EC30522
	buffer_load_dwordx4 a[0:3], v34, s[12:15], 0 offen         // 000000004E98: E05C1000 80830022
	v_mfma_f32_16x16x32_fp8_fp8 v[180:183], a[32:33], v[136:137], 0// 000000004EA0: D3F300B4 0A031120
	ds_read_b32 v66, v4 offset:36128                           // 000000004EA8: D86C8D20 42000004
	ds_read_b32 v67, v4 offset:40480                           // 000000004EB0: D86C9E20 43000004
	v_mfma_f32_16x16x32_fp8_fp8 v[180:183], a[34:35], v[138:139], v[180:183]// 000000004EB8: D3F300B4 0ED31522
	v_mfma_f32_16x16x32_fp8_fp8 v[184:187], a[36:37], v[128:129], 0// 000000004EC0: D3F300B8 0A030124
	ds_read_b32 v68, v4 offset:36160                           // 000000004EC8: D86C8D40 44000004
	ds_read_b32 v69, v4 offset:40512                           // 000000004ED0: D86C9E40 45000004
	v_mfma_f32_16x16x32_fp8_fp8 v[184:187], a[38:39], v[130:131], v[184:187]// 000000004ED8: D3F300B8 0EE30526
	buffer_load_dwordx4 a[4:7], v35, s[12:15], 0 offen         // 000000004EE0: E05C1000 80830423
	v_mfma_f32_16x16x32_fp8_fp8 v[188:191], a[36:37], v[136:137], 0// 000000004EE8: D3F300BC 0A031124
	ds_read_b32 v70, v4 offset:36192                           // 000000004EF0: D86C8D60 46000004
	ds_read_b32 v71, v4 offset:40544                           // 000000004EF8: D86C9E60 47000004
	v_mfma_f32_16x16x32_fp8_fp8 v[188:191], a[38:39], v[138:139], v[188:191]// 000000004F00: D3F300BC 0EF31526
	v_mfma_f32_16x16x32_fp8_fp8 v[192:195], a[40:41], v[128:129], 0// 000000004F08: D3F300C0 0A030128
	ds_read_b32 v72, v4 offset:44800                           // 000000004F10: D86CAF00 48000004
	ds_read_b32 v73, v4 offset:49152                           // 000000004F18: D86CC000 49000004
	v_mfma_f32_16x16x32_fp8_fp8 v[192:195], a[42:43], v[130:131], v[192:195]// 000000004F20: D3F300C0 0F03052A
	buffer_load_dwordx4 a[8:11], v36, s[12:15], 0 offen        // 000000004F28: E05C1000 80830824
	v_mfma_f32_16x16x32_fp8_fp8 v[196:199], a[40:41], v[136:137], 0// 000000004F30: D3F300C4 0A031128
	ds_read_b32 v74, v4 offset:44832                           // 000000004F38: D86CAF20 4A000004
	ds_read_b32 v75, v4 offset:49184                           // 000000004F40: D86CC020 4B000004
	v_mfma_f32_16x16x32_fp8_fp8 v[196:199], a[42:43], v[138:139], v[196:199]// 000000004F48: D3F300C4 0F13152A
	v_mfma_f32_16x16x32_fp8_fp8 v[200:203], a[44:45], v[128:129], 0// 000000004F50: D3F300C8 0A03012C
	ds_read_b32 v76, v4 offset:44864                           // 000000004F58: D86CAF40 4C000004
	ds_read_b32 v77, v4 offset:49216                           // 000000004F60: D86CC040 4D000004
	v_mfma_f32_16x16x32_fp8_fp8 v[200:203], a[46:47], v[130:131], v[200:203]// 000000004F68: D3F300C8 0F23052E
	buffer_load_dwordx4 a[12:15], v37, s[12:15], 0 offen       // 000000004F70: E05C1000 80830C25
	s_add_u32 s12, s78, s12                                    // 000000004F78: 800C0C4E
	s_addc_u32 s13, 0, s13                                     // 000000004F7C: 820D0D80
	v_mfma_f32_16x16x32_fp8_fp8 v[204:207], a[44:45], v[136:137], 0// 000000004F80: D3F300CC 0A03112C
	ds_read_b32 v78, v4 offset:44896                           // 000000004F88: D86CAF60 4E000004
	ds_read_b32 v79, v4 offset:49248                           // 000000004F90: D86CC060 4F000004
	v_mfma_f32_16x16x32_fp8_fp8 v[204:207], a[46:47], v[138:139], v[204:207]// 000000004F98: D3F300CC 0F33152E
	s_waitcnt vmcnt(4)                                         // 000000004FA0: BF8C0F74
	v_mfma_f32_16x16x32_fp8_fp8 v[176:179], a[48:49], v[132:133], v[176:179]// 000000004FA4: D3F300B0 0EC30930
	v_mfma_f32_16x16x32_fp8_fp8 v[176:179], a[50:51], v[134:135], v[176:179]// 000000004FAC: D3F300B0 0EC30D32
	buffer_load_dwordx4 a[16:19], v34, s[12:15], 0 offen       // 000000004FB4: E05C1000 80831022
	v_mfma_f32_16x16x32_fp8_fp8 v[180:183], a[48:49], v[140:141], v[180:183]// 000000004FBC: D3F300B4 0ED31930
	v_mfma_f32_16x16x32_fp8_fp8 v[180:183], a[50:51], v[142:143], v[180:183]// 000000004FC4: D3F300B4 0ED31D32
	buffer_load_dword v11, v5, s[16:19], 0 offen               // 000000004FCC: E0501000 80040B05
	v_mfma_f32_16x16x32_fp8_fp8 v[184:187], a[52:53], v[132:133], v[184:187]// 000000004FD4: D3F300B8 0EE30934
	v_mfma_f32_16x16x32_fp8_fp8 v[184:187], a[54:55], v[134:135], v[184:187]// 000000004FDC: D3F300B8 0EE30D36
	buffer_load_dwordx4 a[20:23], v35, s[12:15], 0 offen       // 000000004FE4: E05C1000 80831423
	v_mfma_f32_16x16x32_fp8_fp8 v[188:191], a[52:53], v[140:141], v[188:191]// 000000004FEC: D3F300BC 0EF31934
	v_mfma_f32_16x16x32_fp8_fp8 v[188:191], a[54:55], v[142:143], v[188:191]// 000000004FF4: D3F300BC 0EF31D36
	v_mfma_f32_16x16x32_fp8_fp8 v[192:195], a[56:57], v[132:133], v[192:195]// 000000004FFC: D3F300C0 0F030938
	v_mfma_f32_16x16x32_fp8_fp8 v[192:195], a[58:59], v[134:135], v[192:195]// 000000005004: D3F300C0 0F030D3A
	buffer_load_dwordx4 a[24:27], v36, s[12:15], 0 offen       // 00000000500C: E05C1000 80831824
	v_mfma_f32_16x16x32_fp8_fp8 v[196:199], a[56:57], v[140:141], v[196:199]// 000000005014: D3F300C4 0F131938
	v_mfma_f32_16x16x32_fp8_fp8 v[196:199], a[58:59], v[142:143], v[196:199]// 00000000501C: D3F300C4 0F131D3A
	v_mfma_f32_16x16x32_fp8_fp8 v[200:203], a[60:61], v[132:133], v[200:203]// 000000005024: D3F300C8 0F23093C
	v_mfma_f32_16x16x32_fp8_fp8 v[200:203], a[62:63], v[134:135], v[200:203]// 00000000502C: D3F300C8 0F230D3E
	buffer_load_dwordx4 a[28:31], v37, s[12:15], 0 offen       // 000000005034: E05C1000 80831C25
	v_mfma_f32_16x16x32_fp8_fp8 v[204:207], a[60:61], v[140:141], v[204:207]// 00000000503C: D3F300CC 0F33193C
	v_mfma_f32_16x16x32_fp8_fp8 v[204:207], a[62:63], v[142:143], v[204:207]// 000000005044: D3F300CC 0F331D3E
	s_add_u32 s60, 0x200, s80                                  // 00000000504C: 803C50FF 00000200
	s_cmp_lt_u32 s60, s81                                      // 000000005054: BF0A513C
	s_cselect_b32 s56, s56, 0                                  // 000000005058: 85388038
	s_cselect_b32 s78, s78, 0                                  // 00000000505C: 854E804E
	s_cselect_b32 s79, s79, 0                                  // 000000005060: 854F804F
	s_add_u32 s12, s56, s12                                    // 000000005064: 800C0C38
	s_addc_u32 s13, 0, s13                                     // 000000005068: 820D0D80
	s_add_u32 s16, s79, s16                                    // 00000000506C: 8010104F
	s_addc_u32 s17, 0, s17                                     // 000000005070: 82111180
	v_mul_f32_e32 v176, v22, v176                              // 000000005074: 0B616116
	v_mul_f32_e32 v177, v22, v177                              // 000000005078: 0B636316
	v_mul_f32_e32 v178, v22, v178                              // 00000000507C: 0B656516
	v_mul_f32_e32 v179, v22, v179                              // 000000005080: 0B676716
	v_mul_f32_dpp v176, v12, v176 row_newbcast:0 row_mask:0xf bank_mask:0xf// 000000005084: 0B6160FA FF01500C
	v_mul_f32_dpp v177, v12, v177 row_newbcast:1 row_mask:0xf bank_mask:0xf// 00000000508C: 0B6362FA FF01510C
	v_mul_f32_dpp v178, v12, v178 row_newbcast:2 row_mask:0xf bank_mask:0xf// 000000005094: 0B6564FA FF01520C
	v_mul_f32_dpp v179, v12, v179 row_newbcast:3 row_mask:0xf bank_mask:0xf// 00000000509C: 0B6766FA FF01530C
	v_mul_f32_e32 v176, v17, v176                              // 0000000050A4: 0B616111
	v_mul_f32_e32 v177, v17, v177                              // 0000000050A8: 0B636311
	v_mul_f32_e32 v178, v17, v178                              // 0000000050AC: 0B656511
	v_mul_f32_e32 v179, v17, v179                              // 0000000050B0: 0B676711
	v_mul_f32_e32 v180, v23, v180                              // 0000000050B4: 0B696917
	v_mul_f32_e32 v181, v23, v181                              // 0000000050B8: 0B6B6B17
	v_mul_f32_e32 v182, v23, v182                              // 0000000050BC: 0B6D6D17
	v_mul_f32_e32 v183, v23, v183                              // 0000000050C0: 0B6F6F17
	v_mul_f32_dpp v180, v12, v180 row_newbcast:0 row_mask:0xf bank_mask:0xf// 0000000050C4: 0B6968FA FF01500C
	v_mul_f32_dpp v181, v12, v181 row_newbcast:1 row_mask:0xf bank_mask:0xf// 0000000050CC: 0B6B6AFA FF01510C
	v_mul_f32_dpp v182, v12, v182 row_newbcast:2 row_mask:0xf bank_mask:0xf// 0000000050D4: 0B6D6CFA FF01520C
	v_mul_f32_dpp v183, v12, v183 row_newbcast:3 row_mask:0xf bank_mask:0xf// 0000000050DC: 0B6F6EFA FF01530C
	v_mul_f32_e32 v180, v18, v180                              // 0000000050E4: 0B696912
	v_mul_f32_e32 v181, v18, v181                              // 0000000050E8: 0B6B6B12
	v_mul_f32_e32 v182, v18, v182                              // 0000000050EC: 0B6D6D12
	v_mul_f32_e32 v183, v18, v183                              // 0000000050F0: 0B6F6F12
	v_mul_f32_e32 v184, v22, v184                              // 0000000050F4: 0B717116
	v_mul_f32_e32 v185, v22, v185                              // 0000000050F8: 0B737316
	v_mul_f32_e32 v186, v22, v186                              // 0000000050FC: 0B757516
	v_mul_f32_e32 v187, v22, v187                              // 000000005100: 0B777716
	v_mul_f32_dpp v184, v12, v184 row_newbcast:4 row_mask:0xf bank_mask:0xf// 000000005104: 0B7170FA FF01540C
	v_mul_f32_dpp v185, v12, v185 row_newbcast:5 row_mask:0xf bank_mask:0xf// 00000000510C: 0B7372FA FF01550C
	v_mul_f32_dpp v186, v12, v186 row_newbcast:6 row_mask:0xf bank_mask:0xf// 000000005114: 0B7574FA FF01560C
	v_mul_f32_dpp v187, v12, v187 row_newbcast:7 row_mask:0xf bank_mask:0xf// 00000000511C: 0B7776FA FF01570C
	v_mul_f32_e32 v184, v17, v184                              // 000000005124: 0B717111
	v_mul_f32_e32 v185, v17, v185                              // 000000005128: 0B737311
	v_mul_f32_e32 v186, v17, v186                              // 00000000512C: 0B757511
	v_mul_f32_e32 v187, v17, v187                              // 000000005130: 0B777711
	v_mul_f32_e32 v188, v23, v188                              // 000000005134: 0B797917
	v_mul_f32_e32 v189, v23, v189                              // 000000005138: 0B7B7B17
	v_mul_f32_e32 v190, v23, v190                              // 00000000513C: 0B7D7D17
	v_mul_f32_e32 v191, v23, v191                              // 000000005140: 0B7F7F17
	v_mul_f32_dpp v188, v12, v188 row_newbcast:4 row_mask:0xf bank_mask:0xf// 000000005144: 0B7978FA FF01540C
	v_mul_f32_dpp v189, v12, v189 row_newbcast:5 row_mask:0xf bank_mask:0xf// 00000000514C: 0B7B7AFA FF01550C
	v_mul_f32_dpp v190, v12, v190 row_newbcast:6 row_mask:0xf bank_mask:0xf// 000000005154: 0B7D7CFA FF01560C
	v_mul_f32_dpp v191, v12, v191 row_newbcast:7 row_mask:0xf bank_mask:0xf// 00000000515C: 0B7F7EFA FF01570C
	v_mul_f32_e32 v188, v18, v188                              // 000000005164: 0B797912
	v_mul_f32_e32 v189, v18, v189                              // 000000005168: 0B7B7B12
	v_mul_f32_e32 v190, v18, v190                              // 00000000516C: 0B7D7D12
	v_mul_f32_e32 v191, v18, v191                              // 000000005170: 0B7F7F12
	v_mul_f32_e32 v192, v22, v192                              // 000000005174: 0B818116
	v_mul_f32_e32 v193, v22, v193                              // 000000005178: 0B838316
	v_mul_f32_e32 v194, v22, v194                              // 00000000517C: 0B858516
	v_mul_f32_e32 v195, v22, v195                              // 000000005180: 0B878716
	v_mul_f32_dpp v192, v12, v192 row_newbcast:8 row_mask:0xf bank_mask:0xf// 000000005184: 0B8180FA FF01580C
	v_mul_f32_dpp v193, v12, v193 row_newbcast:9 row_mask:0xf bank_mask:0xf// 00000000518C: 0B8382FA FF01590C
	v_mul_f32_dpp v194, v12, v194 row_newbcast:10 row_mask:0xf bank_mask:0xf// 000000005194: 0B8584FA FF015A0C
	v_mul_f32_dpp v195, v12, v195 row_newbcast:11 row_mask:0xf bank_mask:0xf// 00000000519C: 0B8786FA FF015B0C
	v_mul_f32_e32 v192, v17, v192                              // 0000000051A4: 0B818111
	v_mul_f32_e32 v193, v17, v193                              // 0000000051A8: 0B838311
	v_mul_f32_e32 v194, v17, v194                              // 0000000051AC: 0B858511
	v_mul_f32_e32 v195, v17, v195                              // 0000000051B0: 0B878711
	v_mul_f32_e32 v196, v23, v196                              // 0000000051B4: 0B898917
	v_mul_f32_e32 v197, v23, v197                              // 0000000051B8: 0B8B8B17
	v_mul_f32_e32 v198, v23, v198                              // 0000000051BC: 0B8D8D17
	v_mul_f32_e32 v199, v23, v199                              // 0000000051C0: 0B8F8F17
	v_mul_f32_dpp v196, v12, v196 row_newbcast:8 row_mask:0xf bank_mask:0xf// 0000000051C4: 0B8988FA FF01580C
	v_mul_f32_dpp v197, v12, v197 row_newbcast:9 row_mask:0xf bank_mask:0xf// 0000000051CC: 0B8B8AFA FF01590C
	v_mul_f32_dpp v198, v12, v198 row_newbcast:10 row_mask:0xf bank_mask:0xf// 0000000051D4: 0B8D8CFA FF015A0C
	v_mul_f32_dpp v199, v12, v199 row_newbcast:11 row_mask:0xf bank_mask:0xf// 0000000051DC: 0B8F8EFA FF015B0C
	v_mul_f32_e32 v196, v18, v196                              // 0000000051E4: 0B898912
	v_mul_f32_e32 v197, v18, v197                              // 0000000051E8: 0B8B8B12
	v_mul_f32_e32 v198, v18, v198                              // 0000000051EC: 0B8D8D12
	v_mul_f32_e32 v199, v18, v199                              // 0000000051F0: 0B8F8F12
	v_mul_f32_e32 v200, v22, v200                              // 0000000051F4: 0B919116
	v_mul_f32_e32 v201, v22, v201                              // 0000000051F8: 0B939316
	v_mul_f32_e32 v202, v22, v202                              // 0000000051FC: 0B959516
	v_mul_f32_e32 v203, v22, v203                              // 000000005200: 0B979716
	v_mul_f32_dpp v200, v12, v200 row_newbcast:12 row_mask:0xf bank_mask:0xf// 000000005204: 0B9190FA FF015C0C
	v_mul_f32_dpp v201, v12, v201 row_newbcast:13 row_mask:0xf bank_mask:0xf// 00000000520C: 0B9392FA FF015D0C
	v_mul_f32_dpp v202, v12, v202 row_newbcast:14 row_mask:0xf bank_mask:0xf// 000000005214: 0B9594FA FF015E0C
	v_mul_f32_dpp v203, v12, v203 row_newbcast:15 row_mask:0xf bank_mask:0xf// 00000000521C: 0B9796FA FF015F0C
	v_mul_f32_e32 v200, v17, v200                              // 000000005224: 0B919111
	v_mul_f32_e32 v201, v17, v201                              // 000000005228: 0B939311
	v_mul_f32_e32 v202, v17, v202                              // 00000000522C: 0B959511
	v_mul_f32_e32 v203, v17, v203                              // 000000005230: 0B979711
	v_mul_f32_e32 v204, v23, v204                              // 000000005234: 0B999917
	v_mul_f32_e32 v205, v23, v205                              // 000000005238: 0B9B9B17
	v_mul_f32_e32 v206, v23, v206                              // 00000000523C: 0B9D9D17
	v_mul_f32_e32 v207, v23, v207                              // 000000005240: 0B9F9F17
	v_mul_f32_dpp v204, v12, v204 row_newbcast:12 row_mask:0xf bank_mask:0xf// 000000005244: 0B9998FA FF015C0C
	v_mul_f32_dpp v205, v12, v205 row_newbcast:13 row_mask:0xf bank_mask:0xf// 00000000524C: 0B9B9AFA FF015D0C
	v_mul_f32_dpp v206, v12, v206 row_newbcast:14 row_mask:0xf bank_mask:0xf// 000000005254: 0B9D9CFA FF015E0C
	v_mul_f32_dpp v207, v12, v207 row_newbcast:15 row_mask:0xf bank_mask:0xf// 00000000525C: 0B9F9EFA FF015F0C
	v_mul_f32_e32 v204, v18, v204                              // 000000005264: 0B999912
	v_mul_f32_e32 v205, v18, v205                              // 000000005268: 0B9B9B12
	v_mul_f32_e32 v206, v18, v206                              // 00000000526C: 0B9D9D12
	v_mul_f32_e32 v207, v18, v207                              // 000000005270: 0B9F9F12
	v_cmp_u_f32_e64 s[48:49], v176, v176                       // 000000005274: D0480030 000361B0
	v_add3_u32 v38, v176, v41, 1                               // 00000000527C: D1FF0026 020653B0
	v_cndmask_b32_e64 v44, v38, v40, s[48:49]                  // 000000005284: D100002C 00C25126
	v_cmp_u_f32_e64 s[48:49], v177, v177                       // 00000000528C: D0480030 000363B1
	v_add3_u32 v38, v177, v41, 1                               // 000000005294: D1FF0026 020653B1
	v_cndmask_b32_e64 v45, v38, v40, s[48:49]                  // 00000000529C: D100002D 00C25126
	v_perm_b32 v176, v45, v44, s52                             // 0000000052A4: D1ED00B0 00D2592D
	v_cmp_u_f32_e64 s[48:49], v178, v178                       // 0000000052AC: D0480030 000365B2
	v_add3_u32 v38, v178, v41, 1                               // 0000000052B4: D1FF0026 020653B2
	v_cndmask_b32_e64 v44, v38, v40, s[48:49]                  // 0000000052BC: D100002C 00C25126
	v_cmp_u_f32_e64 s[48:49], v179, v179                       // 0000000052C4: D0480030 000367B3
	v_add3_u32 v38, v179, v41, 1                               // 0000000052CC: D1FF0026 020653B3
	v_cndmask_b32_e64 v45, v38, v40, s[48:49]                  // 0000000052D4: D100002D 00C25126
	v_perm_b32 v177, v45, v44, s52                             // 0000000052DC: D1ED00B1 00D2592D
	v_cmp_u_f32_e64 s[48:49], v180, v180                       // 0000000052E4: D0480030 000369B4
	v_add3_u32 v38, v180, v41, 1                               // 0000000052EC: D1FF0026 020653B4
	v_cndmask_b32_e64 v44, v38, v40, s[48:49]                  // 0000000052F4: D100002C 00C25126
	v_cmp_u_f32_e64 s[48:49], v181, v181                       // 0000000052FC: D0480030 00036BB5
	v_add3_u32 v38, v181, v41, 1                               // 000000005304: D1FF0026 020653B5
	v_cndmask_b32_e64 v45, v38, v40, s[48:49]                  // 00000000530C: D100002D 00C25126
	v_perm_b32 v178, v45, v44, s52                             // 000000005314: D1ED00B2 00D2592D
	v_cmp_u_f32_e64 s[48:49], v182, v182                       // 00000000531C: D0480030 00036DB6
	v_add3_u32 v38, v182, v41, 1                               // 000000005324: D1FF0026 020653B6
	v_cndmask_b32_e64 v44, v38, v40, s[48:49]                  // 00000000532C: D100002C 00C25126
	v_cmp_u_f32_e64 s[48:49], v183, v183                       // 000000005334: D0480030 00036FB7
	v_add3_u32 v38, v183, v41, 1                               // 00000000533C: D1FF0026 020653B7
	v_cndmask_b32_e64 v45, v38, v40, s[48:49]                  // 000000005344: D100002D 00C25126
	v_perm_b32 v179, v45, v44, s52                             // 00000000534C: D1ED00B3 00D2592D
	v_cmp_u_f32_e64 s[48:49], v184, v184                       // 000000005354: D0480030 000371B8
	v_add3_u32 v38, v184, v41, 1                               // 00000000535C: D1FF0026 020653B8
	v_cndmask_b32_e64 v44, v38, v40, s[48:49]                  // 000000005364: D100002C 00C25126
	v_cmp_u_f32_e64 s[48:49], v185, v185                       // 00000000536C: D0480030 000373B9
	v_add3_u32 v38, v185, v41, 1                               // 000000005374: D1FF0026 020653B9
	v_cndmask_b32_e64 v45, v38, v40, s[48:49]                  // 00000000537C: D100002D 00C25126
	v_perm_b32 v180, v45, v44, s52                             // 000000005384: D1ED00B4 00D2592D
	v_cmp_u_f32_e64 s[48:49], v186, v186                       // 00000000538C: D0480030 000375BA
	v_add3_u32 v38, v186, v41, 1                               // 000000005394: D1FF0026 020653BA
	v_cndmask_b32_e64 v44, v38, v40, s[48:49]                  // 00000000539C: D100002C 00C25126
	v_cmp_u_f32_e64 s[48:49], v187, v187                       // 0000000053A4: D0480030 000377BB
	v_add3_u32 v38, v187, v41, 1                               // 0000000053AC: D1FF0026 020653BB
	v_cndmask_b32_e64 v45, v38, v40, s[48:49]                  // 0000000053B4: D100002D 00C25126
	v_perm_b32 v181, v45, v44, s52                             // 0000000053BC: D1ED00B5 00D2592D
	v_cmp_u_f32_e64 s[48:49], v188, v188                       // 0000000053C4: D0480030 000379BC
	v_add3_u32 v38, v188, v41, 1                               // 0000000053CC: D1FF0026 020653BC
	v_cndmask_b32_e64 v44, v38, v40, s[48:49]                  // 0000000053D4: D100002C 00C25126
	v_cmp_u_f32_e64 s[48:49], v189, v189                       // 0000000053DC: D0480030 00037BBD
	v_add3_u32 v38, v189, v41, 1                               // 0000000053E4: D1FF0026 020653BD
	v_cndmask_b32_e64 v45, v38, v40, s[48:49]                  // 0000000053EC: D100002D 00C25126
	v_perm_b32 v182, v45, v44, s52                             // 0000000053F4: D1ED00B6 00D2592D
	v_cmp_u_f32_e64 s[48:49], v190, v190                       // 0000000053FC: D0480030 00037DBE
	v_add3_u32 v38, v190, v41, 1                               // 000000005404: D1FF0026 020653BE
	v_cndmask_b32_e64 v44, v38, v40, s[48:49]                  // 00000000540C: D100002C 00C25126
	v_cmp_u_f32_e64 s[48:49], v191, v191                       // 000000005414: D0480030 00037FBF
	v_add3_u32 v38, v191, v41, 1                               // 00000000541C: D1FF0026 020653BF
	v_cndmask_b32_e64 v45, v38, v40, s[48:49]                  // 000000005424: D100002D 00C25126
	v_perm_b32 v183, v45, v44, s52                             // 00000000542C: D1ED00B7 00D2592D
	v_cmp_u_f32_e64 s[48:49], v192, v192                       // 000000005434: D0480030 000381C0
	v_add3_u32 v38, v192, v41, 1                               // 00000000543C: D1FF0026 020653C0
	v_cndmask_b32_e64 v44, v38, v40, s[48:49]                  // 000000005444: D100002C 00C25126
	v_cmp_u_f32_e64 s[48:49], v193, v193                       // 00000000544C: D0480030 000383C1
	v_add3_u32 v38, v193, v41, 1                               // 000000005454: D1FF0026 020653C1
	v_cndmask_b32_e64 v45, v38, v40, s[48:49]                  // 00000000545C: D100002D 00C25126
	v_perm_b32 v184, v45, v44, s52                             // 000000005464: D1ED00B8 00D2592D
	v_cmp_u_f32_e64 s[48:49], v194, v194                       // 00000000546C: D0480030 000385C2
	v_add3_u32 v38, v194, v41, 1                               // 000000005474: D1FF0026 020653C2
	v_cndmask_b32_e64 v44, v38, v40, s[48:49]                  // 00000000547C: D100002C 00C25126
	v_cmp_u_f32_e64 s[48:49], v195, v195                       // 000000005484: D0480030 000387C3
	v_add3_u32 v38, v195, v41, 1                               // 00000000548C: D1FF0026 020653C3
	v_cndmask_b32_e64 v45, v38, v40, s[48:49]                  // 000000005494: D100002D 00C25126
	v_perm_b32 v185, v45, v44, s52                             // 00000000549C: D1ED00B9 00D2592D
	v_cmp_u_f32_e64 s[48:49], v196, v196                       // 0000000054A4: D0480030 000389C4
	v_add3_u32 v38, v196, v41, 1                               // 0000000054AC: D1FF0026 020653C4
	v_cndmask_b32_e64 v44, v38, v40, s[48:49]                  // 0000000054B4: D100002C 00C25126
	v_cmp_u_f32_e64 s[48:49], v197, v197                       // 0000000054BC: D0480030 00038BC5
	v_add3_u32 v38, v197, v41, 1                               // 0000000054C4: D1FF0026 020653C5
	v_cndmask_b32_e64 v45, v38, v40, s[48:49]                  // 0000000054CC: D100002D 00C25126
	v_perm_b32 v186, v45, v44, s52                             // 0000000054D4: D1ED00BA 00D2592D
	v_cmp_u_f32_e64 s[48:49], v198, v198                       // 0000000054DC: D0480030 00038DC6
	v_add3_u32 v38, v198, v41, 1                               // 0000000054E4: D1FF0026 020653C6
	v_cndmask_b32_e64 v44, v38, v40, s[48:49]                  // 0000000054EC: D100002C 00C25126
	v_cmp_u_f32_e64 s[48:49], v199, v199                       // 0000000054F4: D0480030 00038FC7
	v_add3_u32 v38, v199, v41, 1                               // 0000000054FC: D1FF0026 020653C7
	v_cndmask_b32_e64 v45, v38, v40, s[48:49]                  // 000000005504: D100002D 00C25126
	v_perm_b32 v187, v45, v44, s52                             // 00000000550C: D1ED00BB 00D2592D
	v_cmp_u_f32_e64 s[48:49], v200, v200                       // 000000005514: D0480030 000391C8
	v_add3_u32 v38, v200, v41, 1                               // 00000000551C: D1FF0026 020653C8
	v_cndmask_b32_e64 v44, v38, v40, s[48:49]                  // 000000005524: D100002C 00C25126
	v_cmp_u_f32_e64 s[48:49], v201, v201                       // 00000000552C: D0480030 000393C9
	v_add3_u32 v38, v201, v41, 1                               // 000000005534: D1FF0026 020653C9
	v_cndmask_b32_e64 v45, v38, v40, s[48:49]                  // 00000000553C: D100002D 00C25126
	v_perm_b32 v188, v45, v44, s52                             // 000000005544: D1ED00BC 00D2592D
	v_cmp_u_f32_e64 s[48:49], v202, v202                       // 00000000554C: D0480030 000395CA
	v_add3_u32 v38, v202, v41, 1                               // 000000005554: D1FF0026 020653CA
	v_cndmask_b32_e64 v44, v38, v40, s[48:49]                  // 00000000555C: D100002C 00C25126
	v_cmp_u_f32_e64 s[48:49], v203, v203                       // 000000005564: D0480030 000397CB
	v_add3_u32 v38, v203, v41, 1                               // 00000000556C: D1FF0026 020653CB
	v_cndmask_b32_e64 v45, v38, v40, s[48:49]                  // 000000005574: D100002D 00C25126
	v_perm_b32 v189, v45, v44, s52                             // 00000000557C: D1ED00BD 00D2592D
	v_cmp_u_f32_e64 s[48:49], v204, v204                       // 000000005584: D0480030 000399CC
	v_add3_u32 v38, v204, v41, 1                               // 00000000558C: D1FF0026 020653CC
	v_cndmask_b32_e64 v44, v38, v40, s[48:49]                  // 000000005594: D100002C 00C25126
	v_cmp_u_f32_e64 s[48:49], v205, v205                       // 00000000559C: D0480030 00039BCD
	v_add3_u32 v38, v205, v41, 1                               // 0000000055A4: D1FF0026 020653CD
	v_cndmask_b32_e64 v45, v38, v40, s[48:49]                  // 0000000055AC: D100002D 00C25126
	v_perm_b32 v190, v45, v44, s52                             // 0000000055B4: D1ED00BE 00D2592D
	v_cmp_u_f32_e64 s[48:49], v206, v206                       // 0000000055BC: D0480030 00039DCE
	v_add3_u32 v38, v206, v41, 1                               // 0000000055C4: D1FF0026 020653CE
	v_cndmask_b32_e64 v44, v38, v40, s[48:49]                  // 0000000055CC: D100002C 00C25126
	v_cmp_u_f32_e64 s[48:49], v207, v207                       // 0000000055D4: D0480030 00039FCF
	v_add3_u32 v38, v207, v41, 1                               // 0000000055DC: D1FF0026 020653CF
	v_cndmask_b32_e64 v45, v38, v40, s[48:49]                  // 0000000055E4: D100002D 00C25126
	v_perm_b32 v191, v45, v44, s52                             // 0000000055EC: D1ED00BF 00D2592D
	s_cmp_ge_u32 s80, 0x200                                    // 0000000055F4: BF09FF50 00000200
	s_cselect_b32 s59, 0x200, s59                              // 0000000055FC: 853B3BFF 00000200
	s_setvskip s20, 0                                          // 000000005604: BF108014
	global_atomic_pk_add_bf16 v80, v64, s[8:9]                 // 000000005608: DD488000 00084050
	s_setvskip 0, 0                                            // 000000005610: BF108080
	s_setvskip s20, 0                                          // 000000005614: BF108014
	global_atomic_pk_add_bf16 v80, v65, s[8:9] offset:256      // 000000005618: DD488100 00084150
	s_setvskip 0, 0                                            // 000000005620: BF108080
	s_setvskip s20, 1                                          // 000000005624: BF108114
	global_atomic_pk_add_bf16 v82, v66, s[8:9]                 // 000000005628: DD488000 00084252
	s_setvskip 0, 0                                            // 000000005630: BF108080
	s_setvskip s20, 1                                          // 000000005634: BF108114
	global_atomic_pk_add_bf16 v82, v67, s[8:9] offset:256      // 000000005638: DD488100 00084352
	s_setvskip 0, 0                                            // 000000005640: BF108080
	s_setvskip s20, 2                                          // 000000005644: BF108214
	global_atomic_pk_add_bf16 v84, v68, s[8:9]                 // 000000005648: DD488000 00084454
	s_setvskip 0, 0                                            // 000000005650: BF108080
	s_setvskip s20, 2                                          // 000000005654: BF108214
	global_atomic_pk_add_bf16 v84, v69, s[8:9] offset:256      // 000000005658: DD488100 00084554
	s_setvskip 0, 0                                            // 000000005660: BF108080
	s_setvskip s20, 3                                          // 000000005664: BF108314
	global_atomic_pk_add_bf16 v86, v70, s[8:9]                 // 000000005668: DD488000 00084656
	s_setvskip 0, 0                                            // 000000005670: BF108080
	s_setvskip s20, 3                                          // 000000005674: BF108314
	global_atomic_pk_add_bf16 v86, v71, s[8:9] offset:256      // 000000005678: DD488100 00084756
	s_setvskip 0, 0                                            // 000000005680: BF108080
	s_setvskip s20, 4                                          // 000000005684: BF108414
	global_atomic_pk_add_bf16 v88, v72, s[8:9]                 // 000000005688: DD488000 00084858
	s_setvskip 0, 0                                            // 000000005690: BF108080
	s_setvskip s20, 4                                          // 000000005694: BF108414
	global_atomic_pk_add_bf16 v88, v73, s[8:9] offset:256      // 000000005698: DD488100 00084958
	s_setvskip 0, 0                                            // 0000000056A0: BF108080
	s_setvskip s20, 5                                          // 0000000056A4: BF108514
	global_atomic_pk_add_bf16 v90, v74, s[8:9]                 // 0000000056A8: DD488000 00084A5A
	s_setvskip 0, 0                                            // 0000000056B0: BF108080
	s_setvskip s20, 5                                          // 0000000056B4: BF108514
	global_atomic_pk_add_bf16 v90, v75, s[8:9] offset:256      // 0000000056B8: DD488100 00084B5A
	s_setvskip 0, 0                                            // 0000000056C0: BF108080
	s_setvskip s20, 6                                          // 0000000056C4: BF108614
	global_atomic_pk_add_bf16 v92, v76, s[8:9]                 // 0000000056C8: DD488000 00084C5C
	s_setvskip 0, 0                                            // 0000000056D0: BF108080
	s_setvskip s20, 6                                          // 0000000056D4: BF108614
	global_atomic_pk_add_bf16 v92, v77, s[8:9] offset:256      // 0000000056D8: DD488100 00084D5C
	s_setvskip 0, 0                                            // 0000000056E0: BF108080
	s_setvskip s20, 7                                          // 0000000056E4: BF108714
	global_atomic_pk_add_bf16 v94, v78, s[8:9]                 // 0000000056E8: DD488000 00084E5E
	s_setvskip 0, 0                                            // 0000000056F0: BF108080
	s_setvskip s20, 7                                          // 0000000056F4: BF108714
	global_atomic_pk_add_bf16 v94, v79, s[8:9] offset:256      // 0000000056F8: DD488100 00084F5E
	s_setvskip 0, 0                                            // 000000005700: BF108080
	s_add_u32 s8, s59, s8                                      // 000000005704: 8008083B
	s_addc_u32 s9, 0, s9                                       // 000000005708: 82090980
	s_addk_i32 s80, 0x100                                      // 00000000570C: B7500100
	s_cmp_lt_i32 s80, s81                                      // 000000005710: BF045150
	s_cbranch_scc0 label_0A47                                  // 000000005714: BF840001
	s_branch label_05F2                                        // 000000005718: BF82FBAB

000000000000571c <label_0A47>:
	s_nop 0                                                    // 00000000571C: BF800000
	s_nop 0                                                    // 000000005720: BF800000
	s_branch label_1284                                        // 000000005724: BF82083A

0000000000005728 <label_0A4A>:
	s_waitcnt vmcnt(0) lgkmcnt(0)                              // 000000005728: BF8C0070
	s_barrier                                                  // 00000000572C: BF8A0000
	v_mfma_f32_16x16x32_fp8_fp8 v[128:131], a[0:1], v[144:145], v[128:131]// 000000005730: D3F30080 0E032100
	buffer_load_dwordx4 a[32:35], v32, s[92:95], 0 offen       // 000000005738: E05C1000 80972020
	v_mfma_f32_16x16x32_fp8_fp8 v[128:131], a[2:3], v[146:147], v[128:131]// 000000005740: D3F30080 0E032502
	v_mfma_f32_16x16x32_fp8_fp8 v[128:131], a[4:5], v[148:149], v[128:131]// 000000005748: D3F30080 0E032904
	buffer_load_dword v24, s[20:23], 0 offen lds               // 000000005750: E0511000 80050018
	s_add_u32 m0, 0x100, s51                                   // 000000005758: 807C33FF 00000100
	v_mfma_f32_16x16x32_fp8_fp8 v[128:131], a[6:7], v[150:151], v[128:131]// 000000005760: D3F30080 0E032D06
	v_mfma_f32_16x16x32_fp8_fp8 v[128:131], a[8:9], v[152:153], v[128:131]// 000000005768: D3F30080 0E033108
	buffer_load_dwordx4 a[36:39], v32, s[92:95], 0 offen offset:1024// 000000005770: E05C1400 80972420
	v_mfma_f32_16x16x32_fp8_fp8 v[128:131], a[10:11], v[154:155], v[128:131]// 000000005778: D3F30080 0E03350A
	v_mfma_f32_16x16x32_fp8_fp8 v[128:131], a[12:13], v[156:157], v[128:131]// 000000005780: D3F30080 0E03390C
	buffer_load_dword v25, s[20:23], 0 offen lds               // 000000005788: E0511000 80050019
	s_add_u32 m0, 0x200, s51                                   // 000000005790: 807C33FF 00000200
	v_mfma_f32_16x16x32_fp8_fp8 v[128:131], a[14:15], v[158:159], v[128:131]// 000000005798: D3F30080 0E033D0E
	v_mfma_f32_16x16x32_fp8_fp8 v[132:135], a[0:1], v[160:161], v[132:135]// 0000000057A0: D3F30084 0E134100
	buffer_load_dwordx4 a[40:43], v32, s[92:95], 0 offen offset:2048// 0000000057A8: E05C1800 80972820
	v_mfma_f32_16x16x32_fp8_fp8 v[132:135], a[2:3], v[162:163], v[132:135]// 0000000057B0: D3F30084 0E134502
	v_mfma_f32_16x16x32_fp8_fp8 v[132:135], a[4:5], v[164:165], v[132:135]// 0000000057B8: D3F30084 0E134904
	buffer_load_dword v26, s[20:23], 0 offen lds               // 0000000057C0: E0511000 8005001A
	s_add_u32 m0, 0x300, s51                                   // 0000000057C8: 807C33FF 00000300
	v_mfma_f32_16x16x32_fp8_fp8 v[132:135], a[6:7], v[166:167], v[132:135]// 0000000057D0: D3F30084 0E134D06
	v_mfma_f32_16x16x32_fp8_fp8 v[132:135], a[8:9], v[168:169], v[132:135]// 0000000057D8: D3F30084 0E135108
	buffer_load_dwordx4 a[44:47], v32, s[92:95], 0 offen offset:3072// 0000000057E0: E05C1C00 80972C20
	v_mfma_f32_16x16x32_fp8_fp8 v[132:135], a[10:11], v[170:171], v[132:135]// 0000000057E8: D3F30084 0E13550A
	v_mfma_f32_16x16x32_fp8_fp8 v[132:135], a[12:13], v[172:173], v[132:135]// 0000000057F0: D3F30084 0E13590C
	buffer_load_dword v27, s[20:23], 0 offen lds               // 0000000057F8: E0511000 8005001B
	s_add_u32 m0, 0x400, s51                                   // 000000005800: 807C33FF 00000400
	v_mfma_f32_16x16x32_fp8_fp8 v[132:135], a[14:15], v[174:175], v[132:135]// 000000005808: D3F30084 0E135D0E
	v_mfma_f32_16x16x32_fp8_fp8 v[136:139], a[16:17], v[144:145], v[136:139]// 000000005810: D3F30088 0E232110
	buffer_load_dwordx4 a[48:51], v33, s[92:95], 0 offen       // 000000005818: E05C1000 80973021
	v_mfma_f32_16x16x32_fp8_fp8 v[136:139], a[18:19], v[146:147], v[136:139]// 000000005820: D3F30088 0E232512
	v_mfma_f32_16x16x32_fp8_fp8 v[136:139], a[20:21], v[148:149], v[136:139]// 000000005828: D3F30088 0E232914
	buffer_load_dword v28, s[20:23], 0 offen lds               // 000000005830: E0511000 8005001C
	s_add_u32 m0, 0x500, s51                                   // 000000005838: 807C33FF 00000500
	v_mfma_f32_16x16x32_fp8_fp8 v[136:139], a[22:23], v[150:151], v[136:139]// 000000005840: D3F30088 0E232D16
	v_mfma_f32_16x16x32_fp8_fp8 v[136:139], a[24:25], v[152:153], v[136:139]// 000000005848: D3F30088 0E233118
	buffer_load_dwordx4 a[52:55], v33, s[92:95], 0 offen offset:1024// 000000005850: E05C1400 80973421
	v_mfma_f32_16x16x32_fp8_fp8 v[136:139], a[26:27], v[154:155], v[136:139]// 000000005858: D3F30088 0E23351A
	v_mfma_f32_16x16x32_fp8_fp8 v[136:139], a[28:29], v[156:157], v[136:139]// 000000005860: D3F30088 0E23391C
	buffer_load_dword v29, s[20:23], 0 offen lds               // 000000005868: E0511000 8005001D
	s_add_u32 m0, 0x600, s51                                   // 000000005870: 807C33FF 00000600
	v_mfma_f32_16x16x32_fp8_fp8 v[136:139], a[30:31], v[158:159], v[136:139]// 000000005878: D3F30088 0E233D1E
	v_mfma_f32_16x16x32_fp8_fp8 v[140:143], a[16:17], v[160:161], v[140:143]// 000000005880: D3F3008C 0E334110
	buffer_load_dwordx4 a[56:59], v33, s[92:95], 0 offen offset:2048// 000000005888: E05C1800 80973821
	v_mfma_f32_16x16x32_fp8_fp8 v[140:143], a[18:19], v[162:163], v[140:143]// 000000005890: D3F3008C 0E334512
	v_mfma_f32_16x16x32_fp8_fp8 v[140:143], a[20:21], v[164:165], v[140:143]// 000000005898: D3F3008C 0E334914
	buffer_load_dword v30, s[20:23], 0 offen lds               // 0000000058A0: E0511000 8005001E
	s_add_u32 m0, 0x700, s51                                   // 0000000058A8: 807C33FF 00000700
	v_mfma_f32_16x16x32_fp8_fp8 v[140:143], a[22:23], v[166:167], v[140:143]// 0000000058B0: D3F3008C 0E334D16
	v_mfma_f32_16x16x32_fp8_fp8 v[140:143], a[24:25], v[168:169], v[140:143]// 0000000058B8: D3F3008C 0E335118
	buffer_load_dwordx4 a[60:63], v33, s[92:95], 0 offen offset:3072// 0000000058C0: E05C1C00 80973C21
	v_mfma_f32_16x16x32_fp8_fp8 v[140:143], a[26:27], v[170:171], v[140:143]// 0000000058C8: D3F3008C 0E33551A
	v_mfma_f32_16x16x32_fp8_fp8 v[140:143], a[28:29], v[172:173], v[140:143]// 0000000058D0: D3F3008C 0E33591C
	buffer_load_dword v31, s[20:23], 0 offen lds               // 0000000058D8: E0511000 8005001F
	s_add_u32 m0, 0, s50                                       // 0000000058E0: 807C3280
	v_mfma_f32_16x16x32_fp8_fp8 v[140:143], a[30:31], v[174:175], v[140:143]// 0000000058E4: D3F3008C 0E335D1E
	s_waitcnt vmcnt(0)                                         // 0000000058EC: BF8C0F70
	s_barrier                                                  // 0000000058F0: BF8A0000
	v_mfma_f32_16x16x32_fp8_fp8 v[64:67], a[32:33], v[144:145], v[64:67]// 0000000058F4: D3F30040 0D032120
	buffer_load_dwordx4 a[0:3], v32, s[24:27], 0 offen         // 0000000058FC: E05C1000 80860020
	v_mfma_f32_16x16x32_fp8_fp8 v[64:67], a[34:35], v[146:147], v[64:67]// 000000005904: D3F30040 0D032522
	v_mfma_f32_16x16x32_fp8_fp8 v[64:67], a[36:37], v[148:149], v[64:67]// 00000000590C: D3F30040 0D032924
	ds_read_b128 v[176:179], v2 offset:8320                    // 000000005914: D9FE2080 B0000002
	v_mfma_f32_16x16x32_fp8_fp8 v[64:67], a[38:39], v[150:151], v[64:67]// 00000000591C: D3F30040 0D032D26
	v_mfma_f32_16x16x32_fp8_fp8 v[64:67], a[40:41], v[152:153], v[64:67]// 000000005924: D3F30040 0D033128
	buffer_load_dwordx4 a[4:7], v32, s[24:27], 0 offen offset:1024// 00000000592C: E05C1400 80860420
	v_mfma_f32_16x16x32_fp8_fp8 v[64:67], a[42:43], v[154:155], v[64:67]// 000000005934: D3F30040 0D03352A
	v_mfma_f32_16x16x32_fp8_fp8 v[64:67], a[44:45], v[156:157], v[64:67]// 00000000593C: D3F30040 0D03392C
	ds_read_b128 v[180:183], v2 offset:8384                    // 000000005944: D9FE20C0 B4000002
	v_mfma_f32_16x16x32_fp8_fp8 v[64:67], a[46:47], v[158:159], v[64:67]// 00000000594C: D3F30040 0D033D2E
	v_mfma_f32_16x16x32_fp8_fp8 v[68:71], a[32:33], v[160:161], v[68:71]// 000000005954: D3F30044 0D134120
	buffer_load_dwordx4 a[8:11], v32, s[24:27], 0 offen offset:2048// 00000000595C: E05C1800 80860820
	v_mfma_f32_16x16x32_fp8_fp8 v[68:71], a[34:35], v[162:163], v[68:71]// 000000005964: D3F30044 0D134522
	v_mfma_f32_16x16x32_fp8_fp8 v[68:71], a[36:37], v[164:165], v[68:71]// 00000000596C: D3F30044 0D134924
	ds_read_b128 v[184:187], v2 offset:8448                    // 000000005974: D9FE2100 B8000002
	v_mfma_f32_16x16x32_fp8_fp8 v[68:71], a[38:39], v[166:167], v[68:71]// 00000000597C: D3F30044 0D134D26
	v_mfma_f32_16x16x32_fp8_fp8 v[68:71], a[40:41], v[168:169], v[68:71]// 000000005984: D3F30044 0D135128
	buffer_load_dwordx4 a[12:15], v32, s[24:27], 0 offen offset:3072// 00000000598C: E05C1C00 80860C20
	v_mfma_f32_16x16x32_fp8_fp8 v[68:71], a[42:43], v[170:171], v[68:71]// 000000005994: D3F30044 0D13552A
	v_mfma_f32_16x16x32_fp8_fp8 v[68:71], a[44:45], v[172:173], v[68:71]// 00000000599C: D3F30044 0D13592C
	ds_read_b128 v[188:191], v2 offset:8512                    // 0000000059A4: D9FE2140 BC000002
	v_mfma_f32_16x16x32_fp8_fp8 v[68:71], a[46:47], v[174:175], v[68:71]// 0000000059AC: D3F30044 0D135D2E
	v_mfma_f32_16x16x32_fp8_fp8 v[72:75], a[48:49], v[144:145], v[72:75]// 0000000059B4: D3F30048 0D232130
	buffer_load_dwordx4 a[16:19], v33, s[24:27], 0 offen       // 0000000059BC: E05C1000 80861021
	v_mfma_f32_16x16x32_fp8_fp8 v[72:75], a[50:51], v[146:147], v[72:75]// 0000000059C4: D3F30048 0D232532
	v_mfma_f32_16x16x32_fp8_fp8 v[72:75], a[52:53], v[148:149], v[72:75]// 0000000059CC: D3F30048 0D232934
	ds_read_b128 v[192:195], v2 offset:9344                    // 0000000059D4: D9FE2480 C0000002
	v_mfma_f32_16x16x32_fp8_fp8 v[72:75], a[54:55], v[150:151], v[72:75]// 0000000059DC: D3F30048 0D232D36
	v_mfma_f32_16x16x32_fp8_fp8 v[72:75], a[56:57], v[152:153], v[72:75]// 0000000059E4: D3F30048 0D233138
	buffer_load_dwordx4 a[20:23], v33, s[24:27], 0 offen offset:1024// 0000000059EC: E05C1400 80861421
	v_mfma_f32_16x16x32_fp8_fp8 v[72:75], a[58:59], v[154:155], v[72:75]// 0000000059F4: D3F30048 0D23353A
	v_mfma_f32_16x16x32_fp8_fp8 v[72:75], a[60:61], v[156:157], v[72:75]// 0000000059FC: D3F30048 0D23393C
	ds_read_b128 v[196:199], v2 offset:9408                    // 000000005A04: D9FE24C0 C4000002
	v_mfma_f32_16x16x32_fp8_fp8 v[72:75], a[62:63], v[158:159], v[72:75]// 000000005A0C: D3F30048 0D233D3E
	v_mfma_f32_16x16x32_fp8_fp8 v[76:79], a[48:49], v[160:161], v[76:79]// 000000005A14: D3F3004C 0D334130
	buffer_load_dwordx4 a[24:27], v33, s[24:27], 0 offen offset:2048// 000000005A1C: E05C1800 80861821
	v_mfma_f32_16x16x32_fp8_fp8 v[76:79], a[50:51], v[162:163], v[76:79]// 000000005A24: D3F3004C 0D334532
	v_mfma_f32_16x16x32_fp8_fp8 v[76:79], a[52:53], v[164:165], v[76:79]// 000000005A2C: D3F3004C 0D334934
	ds_read_b128 v[200:203], v2 offset:9472                    // 000000005A34: D9FE2500 C8000002
	v_mfma_f32_16x16x32_fp8_fp8 v[76:79], a[54:55], v[166:167], v[76:79]// 000000005A3C: D3F3004C 0D334D36
	v_mfma_f32_16x16x32_fp8_fp8 v[76:79], a[56:57], v[168:169], v[76:79]// 000000005A44: D3F3004C 0D335138
	buffer_load_dwordx4 a[28:31], v33, s[24:27], 0 offen offset:3072// 000000005A4C: E05C1C00 80861C21
	v_mfma_f32_16x16x32_fp8_fp8 v[76:79], a[58:59], v[170:171], v[76:79]// 000000005A54: D3F3004C 0D33553A
	v_mfma_f32_16x16x32_fp8_fp8 v[76:79], a[60:61], v[172:173], v[76:79]// 000000005A5C: D3F3004C 0D33593C
	ds_read_b128 v[204:207], v2 offset:9536                    // 000000005A64: D9FE2540 CC000002
	v_mfma_f32_16x16x32_fp8_fp8 v[76:79], a[62:63], v[174:175], v[76:79]// 000000005A6C: D3F3004C 0D335D3E
	s_add_u32 s60, 0x200, s80                                  // 000000005A74: 803C50FF 00000200
	s_cmp_lt_u32 s60, s81                                      // 000000005A7C: BF0A513C
	s_cselect_b32 s57, s57, 0                                  // 000000005A80: 85398039
	s_add_u32 s60, 0x200, s80                                  // 000000005A84: 803C50FF 00000200
	s_cmp_lt_u32 s60, s81                                      // 000000005A8C: BF0A513C
	s_cselect_b32 s58, s58, 0                                  // 000000005A90: 853A803A
	s_add_u32 s20, s57, s20                                    // 000000005A94: 80141439
	s_addc_u32 s21, 0, s21                                     // 000000005A98: 82151580
	s_add_u32 s24, s58, s24                                    // 000000005A9C: 8018183A
	s_addc_u32 s25, 0, s25                                     // 000000005AA0: 82191980
	s_add_u32 s92, s90, s92                                    // 000000005AA4: 805C5C5A
	s_addc_u32 s93, 0, s93                                     // 000000005AA8: 825D5D80
	s_addk_i32 s80, 0x100                                      // 000000005AAC: B7500100
	s_cmp_lt_i32 s80, s81                                      // 000000005AB0: BF045150
	s_cbranch_scc0 label_0C13                                  // 000000005AB4: BF8400E5
	s_waitcnt vmcnt(0) lgkmcnt(0)                              // 000000005AB8: BF8C0070
	s_barrier                                                  // 000000005ABC: BF8A0000
	v_mfma_f32_16x16x32_fp8_fp8 v[128:131], a[0:1], v[176:177], v[128:131]// 000000005AC0: D3F30080 0E036100
	buffer_load_dwordx4 a[32:35], v32, s[92:95], 0 offen       // 000000005AC8: E05C1000 80972020
	v_mfma_f32_16x16x32_fp8_fp8 v[128:131], a[2:3], v[178:179], v[128:131]// 000000005AD0: D3F30080 0E036502
	v_mfma_f32_16x16x32_fp8_fp8 v[128:131], a[4:5], v[180:181], v[128:131]// 000000005AD8: D3F30080 0E036904
	buffer_load_dword v24, s[20:23], 0 offen lds               // 000000005AE0: E0511000 80050018
	s_add_u32 m0, 0x100, s50                                   // 000000005AE8: 807C32FF 00000100
	v_mfma_f32_16x16x32_fp8_fp8 v[128:131], a[6:7], v[182:183], v[128:131]// 000000005AF0: D3F30080 0E036D06
	v_mfma_f32_16x16x32_fp8_fp8 v[128:131], a[8:9], v[184:185], v[128:131]// 000000005AF8: D3F30080 0E037108
	buffer_load_dwordx4 a[36:39], v32, s[92:95], 0 offen offset:1024// 000000005B00: E05C1400 80972420
	v_mfma_f32_16x16x32_fp8_fp8 v[128:131], a[10:11], v[186:187], v[128:131]// 000000005B08: D3F30080 0E03750A
	v_mfma_f32_16x16x32_fp8_fp8 v[128:131], a[12:13], v[188:189], v[128:131]// 000000005B10: D3F30080 0E03790C
	buffer_load_dword v25, s[20:23], 0 offen lds               // 000000005B18: E0511000 80050019
	s_add_u32 m0, 0x200, s50                                   // 000000005B20: 807C32FF 00000200
	v_mfma_f32_16x16x32_fp8_fp8 v[128:131], a[14:15], v[190:191], v[128:131]// 000000005B28: D3F30080 0E037D0E
	v_mfma_f32_16x16x32_fp8_fp8 v[132:135], a[0:1], v[192:193], v[132:135]// 000000005B30: D3F30084 0E138100
	buffer_load_dwordx4 a[40:43], v32, s[92:95], 0 offen offset:2048// 000000005B38: E05C1800 80972820
	v_mfma_f32_16x16x32_fp8_fp8 v[132:135], a[2:3], v[194:195], v[132:135]// 000000005B40: D3F30084 0E138502
	v_mfma_f32_16x16x32_fp8_fp8 v[132:135], a[4:5], v[196:197], v[132:135]// 000000005B48: D3F30084 0E138904
	buffer_load_dword v26, s[20:23], 0 offen lds               // 000000005B50: E0511000 8005001A
	s_add_u32 m0, 0x300, s50                                   // 000000005B58: 807C32FF 00000300
	v_mfma_f32_16x16x32_fp8_fp8 v[132:135], a[6:7], v[198:199], v[132:135]// 000000005B60: D3F30084 0E138D06
	v_mfma_f32_16x16x32_fp8_fp8 v[132:135], a[8:9], v[200:201], v[132:135]// 000000005B68: D3F30084 0E139108
	buffer_load_dwordx4 a[44:47], v32, s[92:95], 0 offen offset:3072// 000000005B70: E05C1C00 80972C20
	v_mfma_f32_16x16x32_fp8_fp8 v[132:135], a[10:11], v[202:203], v[132:135]// 000000005B78: D3F30084 0E13950A
	v_mfma_f32_16x16x32_fp8_fp8 v[132:135], a[12:13], v[204:205], v[132:135]// 000000005B80: D3F30084 0E13990C
	buffer_load_dword v27, s[20:23], 0 offen lds               // 000000005B88: E0511000 8005001B
	s_add_u32 m0, 0x400, s50                                   // 000000005B90: 807C32FF 00000400
	v_mfma_f32_16x16x32_fp8_fp8 v[132:135], a[14:15], v[206:207], v[132:135]// 000000005B98: D3F30084 0E139D0E
	v_mfma_f32_16x16x32_fp8_fp8 v[136:139], a[16:17], v[176:177], v[136:139]// 000000005BA0: D3F30088 0E236110
	buffer_load_dwordx4 a[48:51], v33, s[92:95], 0 offen       // 000000005BA8: E05C1000 80973021
	v_mfma_f32_16x16x32_fp8_fp8 v[136:139], a[18:19], v[178:179], v[136:139]// 000000005BB0: D3F30088 0E236512
	v_mfma_f32_16x16x32_fp8_fp8 v[136:139], a[20:21], v[180:181], v[136:139]// 000000005BB8: D3F30088 0E236914
	buffer_load_dword v28, s[20:23], 0 offen lds               // 000000005BC0: E0511000 8005001C
	s_add_u32 m0, 0x500, s50                                   // 000000005BC8: 807C32FF 00000500
	v_mfma_f32_16x16x32_fp8_fp8 v[136:139], a[22:23], v[182:183], v[136:139]// 000000005BD0: D3F30088 0E236D16
	v_mfma_f32_16x16x32_fp8_fp8 v[136:139], a[24:25], v[184:185], v[136:139]// 000000005BD8: D3F30088 0E237118
	buffer_load_dwordx4 a[52:55], v33, s[92:95], 0 offen offset:1024// 000000005BE0: E05C1400 80973421
	v_mfma_f32_16x16x32_fp8_fp8 v[136:139], a[26:27], v[186:187], v[136:139]// 000000005BE8: D3F30088 0E23751A
	v_mfma_f32_16x16x32_fp8_fp8 v[136:139], a[28:29], v[188:189], v[136:139]// 000000005BF0: D3F30088 0E23791C
	buffer_load_dword v29, s[20:23], 0 offen lds               // 000000005BF8: E0511000 8005001D
	s_add_u32 m0, 0x600, s50                                   // 000000005C00: 807C32FF 00000600
	v_mfma_f32_16x16x32_fp8_fp8 v[136:139], a[30:31], v[190:191], v[136:139]// 000000005C08: D3F30088 0E237D1E
	v_mfma_f32_16x16x32_fp8_fp8 v[140:143], a[16:17], v[192:193], v[140:143]// 000000005C10: D3F3008C 0E338110
	buffer_load_dwordx4 a[56:59], v33, s[92:95], 0 offen offset:2048// 000000005C18: E05C1800 80973821
	v_mfma_f32_16x16x32_fp8_fp8 v[140:143], a[18:19], v[194:195], v[140:143]// 000000005C20: D3F3008C 0E338512
	v_mfma_f32_16x16x32_fp8_fp8 v[140:143], a[20:21], v[196:197], v[140:143]// 000000005C28: D3F3008C 0E338914
	buffer_load_dword v30, s[20:23], 0 offen lds               // 000000005C30: E0511000 8005001E
	s_add_u32 m0, 0x700, s50                                   // 000000005C38: 807C32FF 00000700
	v_mfma_f32_16x16x32_fp8_fp8 v[140:143], a[22:23], v[198:199], v[140:143]// 000000005C40: D3F3008C 0E338D16
	v_mfma_f32_16x16x32_fp8_fp8 v[140:143], a[24:25], v[200:201], v[140:143]// 000000005C48: D3F3008C 0E339118
	buffer_load_dwordx4 a[60:63], v33, s[92:95], 0 offen offset:3072// 000000005C50: E05C1C00 80973C21
	v_mfma_f32_16x16x32_fp8_fp8 v[140:143], a[26:27], v[202:203], v[140:143]// 000000005C58: D3F3008C 0E33951A
	v_mfma_f32_16x16x32_fp8_fp8 v[140:143], a[28:29], v[204:205], v[140:143]// 000000005C60: D3F3008C 0E33991C
	buffer_load_dword v31, s[20:23], 0 offen lds               // 000000005C68: E0511000 8005001F
	s_add_u32 m0, 0, s51                                       // 000000005C70: 807C3380
	v_mfma_f32_16x16x32_fp8_fp8 v[140:143], a[30:31], v[206:207], v[140:143]// 000000005C74: D3F3008C 0E339D1E
	s_waitcnt vmcnt(0)                                         // 000000005C7C: BF8C0F70
	s_barrier                                                  // 000000005C80: BF8A0000
	v_mfma_f32_16x16x32_fp8_fp8 v[64:67], a[32:33], v[176:177], v[64:67]// 000000005C84: D3F30040 0D036120
	buffer_load_dwordx4 a[0:3], v32, s[24:27], 0 offen         // 000000005C8C: E05C1000 80860020
	v_mfma_f32_16x16x32_fp8_fp8 v[64:67], a[34:35], v[178:179], v[64:67]// 000000005C94: D3F30040 0D036522
	v_mfma_f32_16x16x32_fp8_fp8 v[64:67], a[36:37], v[180:181], v[64:67]// 000000005C9C: D3F30040 0D036924
	ds_read_b128 v[144:147], v2                                // 000000005CA4: D9FE0000 90000002
	v_mfma_f32_16x16x32_fp8_fp8 v[64:67], a[38:39], v[182:183], v[64:67]// 000000005CAC: D3F30040 0D036D26
	v_mfma_f32_16x16x32_fp8_fp8 v[64:67], a[40:41], v[184:185], v[64:67]// 000000005CB4: D3F30040 0D037128
	buffer_load_dwordx4 a[4:7], v32, s[24:27], 0 offen offset:1024// 000000005CBC: E05C1400 80860420
	v_mfma_f32_16x16x32_fp8_fp8 v[64:67], a[42:43], v[186:187], v[64:67]// 000000005CC4: D3F30040 0D03752A
	v_mfma_f32_16x16x32_fp8_fp8 v[64:67], a[44:45], v[188:189], v[64:67]// 000000005CCC: D3F30040 0D03792C
	ds_read_b128 v[148:151], v2 offset:64                      // 000000005CD4: D9FE0040 94000002
	v_mfma_f32_16x16x32_fp8_fp8 v[64:67], a[46:47], v[190:191], v[64:67]// 000000005CDC: D3F30040 0D037D2E
	v_mfma_f32_16x16x32_fp8_fp8 v[68:71], a[32:33], v[192:193], v[68:71]// 000000005CE4: D3F30044 0D138120
	buffer_load_dwordx4 a[8:11], v32, s[24:27], 0 offen offset:2048// 000000005CEC: E05C1800 80860820
	v_mfma_f32_16x16x32_fp8_fp8 v[68:71], a[34:35], v[194:195], v[68:71]// 000000005CF4: D3F30044 0D138522
	v_mfma_f32_16x16x32_fp8_fp8 v[68:71], a[36:37], v[196:197], v[68:71]// 000000005CFC: D3F30044 0D138924
	ds_read_b128 v[152:155], v2 offset:128                     // 000000005D04: D9FE0080 98000002
	v_mfma_f32_16x16x32_fp8_fp8 v[68:71], a[38:39], v[198:199], v[68:71]// 000000005D0C: D3F30044 0D138D26
	v_mfma_f32_16x16x32_fp8_fp8 v[68:71], a[40:41], v[200:201], v[68:71]// 000000005D14: D3F30044 0D139128
	buffer_load_dwordx4 a[12:15], v32, s[24:27], 0 offen offset:3072// 000000005D1C: E05C1C00 80860C20
	v_mfma_f32_16x16x32_fp8_fp8 v[68:71], a[42:43], v[202:203], v[68:71]// 000000005D24: D3F30044 0D13952A
	v_mfma_f32_16x16x32_fp8_fp8 v[68:71], a[44:45], v[204:205], v[68:71]// 000000005D2C: D3F30044 0D13992C
	ds_read_b128 v[156:159], v2 offset:192                     // 000000005D34: D9FE00C0 9C000002
	v_mfma_f32_16x16x32_fp8_fp8 v[68:71], a[46:47], v[206:207], v[68:71]// 000000005D3C: D3F30044 0D139D2E
	v_mfma_f32_16x16x32_fp8_fp8 v[72:75], a[48:49], v[176:177], v[72:75]// 000000005D44: D3F30048 0D236130
	buffer_load_dwordx4 a[16:19], v33, s[24:27], 0 offen       // 000000005D4C: E05C1000 80861021
	v_mfma_f32_16x16x32_fp8_fp8 v[72:75], a[50:51], v[178:179], v[72:75]// 000000005D54: D3F30048 0D236532
	v_mfma_f32_16x16x32_fp8_fp8 v[72:75], a[52:53], v[180:181], v[72:75]// 000000005D5C: D3F30048 0D236934
	ds_read_b128 v[160:163], v2 offset:1024                    // 000000005D64: D9FE0400 A0000002
	v_mfma_f32_16x16x32_fp8_fp8 v[72:75], a[54:55], v[182:183], v[72:75]// 000000005D6C: D3F30048 0D236D36
	v_mfma_f32_16x16x32_fp8_fp8 v[72:75], a[56:57], v[184:185], v[72:75]// 000000005D74: D3F30048 0D237138
	buffer_load_dwordx4 a[20:23], v33, s[24:27], 0 offen offset:1024// 000000005D7C: E05C1400 80861421
	v_mfma_f32_16x16x32_fp8_fp8 v[72:75], a[58:59], v[186:187], v[72:75]// 000000005D84: D3F30048 0D23753A
	v_mfma_f32_16x16x32_fp8_fp8 v[72:75], a[60:61], v[188:189], v[72:75]// 000000005D8C: D3F30048 0D23793C
	ds_read_b128 v[164:167], v2 offset:1088                    // 000000005D94: D9FE0440 A4000002
	v_mfma_f32_16x16x32_fp8_fp8 v[72:75], a[62:63], v[190:191], v[72:75]// 000000005D9C: D3F30048 0D237D3E
	v_mfma_f32_16x16x32_fp8_fp8 v[76:79], a[48:49], v[192:193], v[76:79]// 000000005DA4: D3F3004C 0D338130
	buffer_load_dwordx4 a[24:27], v33, s[24:27], 0 offen offset:2048// 000000005DAC: E05C1800 80861821
	v_mfma_f32_16x16x32_fp8_fp8 v[76:79], a[50:51], v[194:195], v[76:79]// 000000005DB4: D3F3004C 0D338532
	v_mfma_f32_16x16x32_fp8_fp8 v[76:79], a[52:53], v[196:197], v[76:79]// 000000005DBC: D3F3004C 0D338934
	ds_read_b128 v[168:171], v2 offset:1152                    // 000000005DC4: D9FE0480 A8000002
	v_mfma_f32_16x16x32_fp8_fp8 v[76:79], a[54:55], v[198:199], v[76:79]// 000000005DCC: D3F3004C 0D338D36
	v_mfma_f32_16x16x32_fp8_fp8 v[76:79], a[56:57], v[200:201], v[76:79]// 000000005DD4: D3F3004C 0D339138
	buffer_load_dwordx4 a[28:31], v33, s[24:27], 0 offen offset:3072// 000000005DDC: E05C1C00 80861C21
	v_mfma_f32_16x16x32_fp8_fp8 v[76:79], a[58:59], v[202:203], v[76:79]// 000000005DE4: D3F3004C 0D33953A
	v_mfma_f32_16x16x32_fp8_fp8 v[76:79], a[60:61], v[204:205], v[76:79]// 000000005DEC: D3F3004C 0D33993C
	ds_read_b128 v[172:175], v2 offset:1216                    // 000000005DF4: D9FE04C0 AC000002
	v_mfma_f32_16x16x32_fp8_fp8 v[76:79], a[62:63], v[206:207], v[76:79]// 000000005DFC: D3F3004C 0D339D3E
	s_add_u32 s60, 0x200, s80                                  // 000000005E04: 803C50FF 00000200
	s_cmp_lt_u32 s60, s81                                      // 000000005E0C: BF0A513C
	s_cselect_b32 s57, s57, 0                                  // 000000005E10: 85398039
	s_add_u32 s60, 0x200, s80                                  // 000000005E14: 803C50FF 00000200
	s_cmp_lt_u32 s60, s81                                      // 000000005E1C: BF0A513C
	s_cselect_b32 s58, s58, 0                                  // 000000005E20: 853A803A
	s_add_u32 s20, s57, s20                                    // 000000005E24: 80141439
	s_addc_u32 s21, 0, s21                                     // 000000005E28: 82151580
	s_add_u32 s24, s58, s24                                    // 000000005E2C: 8018183A
	s_addc_u32 s25, 0, s25                                     // 000000005E30: 82191980
	s_add_u32 s92, s90, s92                                    // 000000005E34: 805C5C5A
	s_addc_u32 s93, 0, s93                                     // 000000005E38: 825D5D80
	s_addk_i32 s80, 0x100                                      // 000000005E3C: B7500100
	s_cmp_lt_i32 s80, s81                                      // 000000005E40: BF045150
	s_cbranch_scc0 label_0C13                                  // 000000005E44: BF840001
	s_branch label_0A4A                                        // 000000005E48: BF82FE37

0000000000005e4c <label_0C13>:
	s_mov_b32 s20, 0                                           // 000000005E4C: BE940080
	s_cmp_lt_u32 s89, s66                                      // 000000005E50: BF0A4259
	s_cselect_b32 s60, 0, 1                                    // 000000005E54: 853C8180
	s_lshl1_add_u32 s20, s20, s60                              // 000000005E58: 97143C14
	s_cmp_lt_u32 s88, s66                                      // 000000005E5C: BF0A4258
	s_cselect_b32 s60, 0, 1                                    // 000000005E60: 853C8180
	s_lshl1_add_u32 s20, s20, s60                              // 000000005E64: 97143C14
	s_cmp_lt_u32 s87, s66                                      // 000000005E68: BF0A4257
	s_cselect_b32 s60, 0, 1                                    // 000000005E6C: 853C8180
	s_lshl1_add_u32 s20, s20, s60                              // 000000005E70: 97143C14
	s_cmp_lt_u32 s86, s66                                      // 000000005E74: BF0A4256
	s_cselect_b32 s60, 0, 1                                    // 000000005E78: 853C8180
	s_lshl1_add_u32 s20, s20, s60                              // 000000005E7C: 97143C14
	s_cmp_lt_u32 s85, s66                                      // 000000005E80: BF0A4255
	s_cselect_b32 s60, 0, 1                                    // 000000005E84: 853C8180
	s_lshl1_add_u32 s20, s20, s60                              // 000000005E88: 97143C14
	s_cmp_lt_u32 s84, s66                                      // 000000005E8C: BF0A4254
	s_cselect_b32 s60, 0, 1                                    // 000000005E90: 853C8180
	s_lshl1_add_u32 s20, s20, s60                              // 000000005E94: 97143C14
	s_cmp_lt_u32 s83, s66                                      // 000000005E98: BF0A4253
	s_cselect_b32 s60, 0, 1                                    // 000000005E9C: 853C8180
	s_lshl1_add_u32 s20, s20, s60                              // 000000005EA0: 97143C14
	s_cmp_lt_u32 s82, s66                                      // 000000005EA4: BF0A4252
	s_cselect_b32 s60, 0, 1                                    // 000000005EA8: 853C8180
	s_lshl1_add_u32 s20, s20, s60                              // 000000005EAC: 97143C14
	v_mul_f32_e32 v128, v13, v128                              // 000000005EB0: 0B01010D
	v_mul_f32_e32 v129, v13, v129                              // 000000005EB4: 0B03030D
	v_mul_f32_e32 v130, v13, v130                              // 000000005EB8: 0B05050D
	v_mul_f32_e32 v131, v13, v131                              // 000000005EBC: 0B07070D
	v_mul_f32_dpp v128, v15, v128 row_newbcast:0 row_mask:0xf bank_mask:0xf// 000000005EC0: 0B0100FA FF01500F
	v_mul_f32_dpp v129, v15, v129 row_newbcast:1 row_mask:0xf bank_mask:0xf// 000000005EC8: 0B0302FA FF01510F
	v_mul_f32_dpp v130, v15, v130 row_newbcast:2 row_mask:0xf bank_mask:0xf// 000000005ED0: 0B0504FA FF01520F
	v_mul_f32_dpp v131, v15, v131 row_newbcast:3 row_mask:0xf bank_mask:0xf// 000000005ED8: 0B0706FA FF01530F
	v_mul_f32_e32 v132, v14, v132                              // 000000005EE0: 0B09090E
	v_mul_f32_e32 v133, v14, v133                              // 000000005EE4: 0B0B0B0E
	v_mul_f32_e32 v134, v14, v134                              // 000000005EE8: 0B0D0D0E
	v_mul_f32_e32 v135, v14, v135                              // 000000005EEC: 0B0F0F0E
	v_mul_f32_dpp v132, v15, v132 row_newbcast:0 row_mask:0xf bank_mask:0xf// 000000005EF0: 0B0908FA FF01500F
	v_mul_f32_dpp v133, v15, v133 row_newbcast:1 row_mask:0xf bank_mask:0xf// 000000005EF8: 0B0B0AFA FF01510F
	v_mul_f32_dpp v134, v15, v134 row_newbcast:2 row_mask:0xf bank_mask:0xf// 000000005F00: 0B0D0CFA FF01520F
	v_mul_f32_dpp v135, v15, v135 row_newbcast:3 row_mask:0xf bank_mask:0xf// 000000005F08: 0B0F0EFA FF01530F
	v_mul_f32_e32 v136, v13, v136                              // 000000005F10: 0B11110D
	v_mul_f32_e32 v137, v13, v137                              // 000000005F14: 0B13130D
	v_mul_f32_e32 v138, v13, v138                              // 000000005F18: 0B15150D
	v_mul_f32_e32 v139, v13, v139                              // 000000005F1C: 0B17170D
	v_mul_f32_dpp v136, v15, v136 row_newbcast:4 row_mask:0xf bank_mask:0xf// 000000005F20: 0B1110FA FF01540F
	v_mul_f32_dpp v137, v15, v137 row_newbcast:5 row_mask:0xf bank_mask:0xf// 000000005F28: 0B1312FA FF01550F
	v_mul_f32_dpp v138, v15, v138 row_newbcast:6 row_mask:0xf bank_mask:0xf// 000000005F30: 0B1514FA FF01560F
	v_mul_f32_dpp v139, v15, v139 row_newbcast:7 row_mask:0xf bank_mask:0xf// 000000005F38: 0B1716FA FF01570F
	v_mul_f32_e32 v140, v14, v140                              // 000000005F40: 0B19190E
	v_mul_f32_e32 v141, v14, v141                              // 000000005F44: 0B1B1B0E
	v_mul_f32_e32 v142, v14, v142                              // 000000005F48: 0B1D1D0E
	v_mul_f32_e32 v143, v14, v143                              // 000000005F4C: 0B1F1F0E
	v_mul_f32_dpp v140, v15, v140 row_newbcast:4 row_mask:0xf bank_mask:0xf// 000000005F50: 0B1918FA FF01540F
	v_mul_f32_dpp v141, v15, v141 row_newbcast:5 row_mask:0xf bank_mask:0xf// 000000005F58: 0B1B1AFA FF01550F
	v_mul_f32_dpp v142, v15, v142 row_newbcast:6 row_mask:0xf bank_mask:0xf// 000000005F60: 0B1D1CFA FF01560F
	v_mul_f32_dpp v143, v15, v143 row_newbcast:7 row_mask:0xf bank_mask:0xf// 000000005F68: 0B1F1EFA FF01570F
	v_mul_f32_e32 v64, v13, v64                                // 000000005F70: 0A80810D
	v_mul_f32_e32 v65, v13, v65                                // 000000005F74: 0A82830D
	v_mul_f32_e32 v66, v13, v66                                // 000000005F78: 0A84850D
	v_mul_f32_e32 v67, v13, v67                                // 000000005F7C: 0A86870D
	v_mul_f32_dpp v64, v42, v64 row_newbcast:0 row_mask:0xf bank_mask:0xf// 000000005F80: 0A8080FA FF01502A
	v_mul_f32_dpp v65, v42, v65 row_newbcast:1 row_mask:0xf bank_mask:0xf// 000000005F88: 0A8282FA FF01512A
	v_mul_f32_dpp v66, v42, v66 row_newbcast:2 row_mask:0xf bank_mask:0xf// 000000005F90: 0A8484FA FF01522A
	v_mul_f32_dpp v67, v42, v67 row_newbcast:3 row_mask:0xf bank_mask:0xf// 000000005F98: 0A8686FA FF01532A
	v_mul_f32_e32 v68, v14, v68                                // 000000005FA0: 0A88890E
	v_mul_f32_e32 v69, v14, v69                                // 000000005FA4: 0A8A8B0E
	v_mul_f32_e32 v70, v14, v70                                // 000000005FA8: 0A8C8D0E
	v_mul_f32_e32 v71, v14, v71                                // 000000005FAC: 0A8E8F0E
	v_mul_f32_dpp v68, v42, v68 row_newbcast:0 row_mask:0xf bank_mask:0xf// 000000005FB0: 0A8888FA FF01502A
	v_mul_f32_dpp v69, v42, v69 row_newbcast:1 row_mask:0xf bank_mask:0xf// 000000005FB8: 0A8A8AFA FF01512A
	v_mul_f32_dpp v70, v42, v70 row_newbcast:2 row_mask:0xf bank_mask:0xf// 000000005FC0: 0A8C8CFA FF01522A
	v_mul_f32_dpp v71, v42, v71 row_newbcast:3 row_mask:0xf bank_mask:0xf// 000000005FC8: 0A8E8EFA FF01532A
	v_mul_f32_e32 v72, v13, v72                                // 000000005FD0: 0A90910D
	v_mul_f32_e32 v73, v13, v73                                // 000000005FD4: 0A92930D
	v_mul_f32_e32 v74, v13, v74                                // 000000005FD8: 0A94950D
	v_mul_f32_e32 v75, v13, v75                                // 000000005FDC: 0A96970D
	v_mul_f32_dpp v72, v42, v72 row_newbcast:4 row_mask:0xf bank_mask:0xf// 000000005FE0: 0A9090FA FF01542A
	v_mul_f32_dpp v73, v42, v73 row_newbcast:5 row_mask:0xf bank_mask:0xf// 000000005FE8: 0A9292FA FF01552A
	v_mul_f32_dpp v74, v42, v74 row_newbcast:6 row_mask:0xf bank_mask:0xf// 000000005FF0: 0A9494FA FF01562A
	v_mul_f32_dpp v75, v42, v75 row_newbcast:7 row_mask:0xf bank_mask:0xf// 000000005FF8: 0A9696FA FF01572A
	v_mul_f32_e32 v76, v14, v76                                // 000000006000: 0A98990E
	v_mul_f32_e32 v77, v14, v77                                // 000000006004: 0A9A9B0E
	v_mul_f32_e32 v78, v14, v78                                // 000000006008: 0A9C9D0E
	v_mul_f32_e32 v79, v14, v79                                // 00000000600C: 0A9E9F0E
	v_mul_f32_dpp v76, v42, v76 row_newbcast:4 row_mask:0xf bank_mask:0xf// 000000006010: 0A9898FA FF01542A
	v_mul_f32_dpp v77, v42, v77 row_newbcast:5 row_mask:0xf bank_mask:0xf// 000000006018: 0A9A9AFA FF01552A
	v_mul_f32_dpp v78, v42, v78 row_newbcast:6 row_mask:0xf bank_mask:0xf// 000000006020: 0A9C9CFA FF01562A
	v_mul_f32_dpp v79, v42, v79 row_newbcast:7 row_mask:0xf bank_mask:0xf// 000000006028: 0A9E9EFA FF01572A
	s_waitcnt vmcnt(4)                                         // 000000006030: BF8C0F74
	buffer_load_dwordx4 a[0:3], v34, s[12:15], 0 offen         // 000000006034: E05C1000 80830022
	v_mul_f32_e64 v44, -v128, s6                               // 00000000603C: D105002C 20000D80
	v_mul_f32_e64 v45, -v129, s6                               // 000000006044: D105002D 20000D81
	v_mul_f32_e64 v46, -v130, s6                               // 00000000604C: D105002E 20000D82
	v_mul_f32_e64 v47, -v131, s6                               // 000000006054: D105002F 20000D83
	v_exp_f32_e32 v44, v44                                     // 00000000605C: 7E58412C
	v_exp_f32_e32 v45, v45                                     // 000000006060: 7E5A412D
	v_exp_f32_e32 v46, v46                                     // 000000006064: 7E5C412E
	v_exp_f32_e32 v47, v47                                     // 000000006068: 7E5E412F
	buffer_load_dwordx4 a[4:7], v35, s[12:15], 0 offen         // 00000000606C: E05C1000 80830423
	v_add_f32_e64 v44, v44, 1.0                                // 000000006074: D101002C 0001E52C
	v_add_f32_e64 v45, v45, 1.0                                // 00000000607C: D101002D 0001E52D
	v_add_f32_e64 v46, v46, 1.0                                // 000000006084: D101002E 0001E52E
	v_add_f32_e64 v47, v47, 1.0                                // 00000000608C: D101002F 0001E52F
	v_rcp_f32_e32 v44, v44                                     // 000000006094: 7E58452C
	v_rcp_f32_e32 v45, v45                                     // 000000006098: 7E5A452D
	v_rcp_f32_e32 v46, v46                                     // 00000000609C: 7E5C452E
	v_rcp_f32_e32 v47, v47                                     // 0000000060A0: 7E5E452F
	v_mul_f32_e32 v128, v128, v44                              // 0000000060A4: 0B005980
	v_mul_f32_e32 v129, v129, v45                              // 0000000060A8: 0B025B81
	v_mul_f32_e32 v130, v130, v46                              // 0000000060AC: 0B045D82
	v_mul_f32_e32 v131, v131, v47                              // 0000000060B0: 0B065F83
	v_mul_f32_e32 v128, v128, v64                              // 0000000060B4: 0B008180
	v_mul_f32_e32 v129, v129, v65                              // 0000000060B8: 0B028381
	v_mul_f32_e32 v130, v130, v66                              // 0000000060BC: 0B048582
	v_mul_f32_e32 v131, v131, v67                              // 0000000060C0: 0B068783
	buffer_load_dwordx4 a[8:11], v36, s[12:15], 0 offen        // 0000000060C4: E05C1000 80830824
	v_mul_f32_e64 v44, -v132, s6                               // 0000000060CC: D105002C 20000D84
	v_mul_f32_e64 v45, -v133, s6                               // 0000000060D4: D105002D 20000D85
	v_mul_f32_e64 v46, -v134, s6                               // 0000000060DC: D105002E 20000D86
	v_mul_f32_e64 v47, -v135, s6                               // 0000000060E4: D105002F 20000D87
	v_exp_f32_e32 v44, v44                                     // 0000000060EC: 7E58412C
	v_exp_f32_e32 v45, v45                                     // 0000000060F0: 7E5A412D
	v_exp_f32_e32 v46, v46                                     // 0000000060F4: 7E5C412E
	v_exp_f32_e32 v47, v47                                     // 0000000060F8: 7E5E412F
	buffer_load_dwordx4 a[12:15], v37, s[12:15], 0 offen       // 0000000060FC: E05C1000 80830C25
	s_add_u32 s12, s78, s12                                    // 000000006104: 800C0C4E
	s_addc_u32 s13, 0, s13                                     // 000000006108: 820D0D80
	v_add_f32_e64 v44, v44, 1.0                                // 00000000610C: D101002C 0001E52C
	v_add_f32_e64 v45, v45, 1.0                                // 000000006114: D101002D 0001E52D
	v_add_f32_e64 v46, v46, 1.0                                // 00000000611C: D101002E 0001E52E
	v_add_f32_e64 v47, v47, 1.0                                // 000000006124: D101002F 0001E52F
	v_rcp_f32_e32 v44, v44                                     // 00000000612C: 7E58452C
	v_rcp_f32_e32 v45, v45                                     // 000000006130: 7E5A452D
	v_rcp_f32_e32 v46, v46                                     // 000000006134: 7E5C452E
	v_rcp_f32_e32 v47, v47                                     // 000000006138: 7E5E452F
	v_mul_f32_e32 v132, v132, v44                              // 00000000613C: 0B085984
	v_mul_f32_e32 v133, v133, v45                              // 000000006140: 0B0A5B85
	v_mul_f32_e32 v134, v134, v46                              // 000000006144: 0B0C5D86
	v_mul_f32_e32 v135, v135, v47                              // 000000006148: 0B0E5F87
	v_mul_f32_e32 v132, v132, v68                              // 00000000614C: 0B088984
	v_mul_f32_e32 v133, v133, v69                              // 000000006150: 0B0A8B85
	v_mul_f32_e32 v134, v134, v70                              // 000000006154: 0B0C8D86
	v_mul_f32_e32 v135, v135, v71                              // 000000006158: 0B0E8F87
	s_waitcnt vmcnt(4)                                         // 00000000615C: BF8C0F74
	buffer_load_dwordx4 a[16:19], v34, s[12:15], 0 offen       // 000000006160: E05C1000 80831022
	v_mul_f32_e64 v44, -v136, s6                               // 000000006168: D105002C 20000D88
	v_mul_f32_e64 v45, -v137, s6                               // 000000006170: D105002D 20000D89
	v_mul_f32_e64 v46, -v138, s6                               // 000000006178: D105002E 20000D8A
	v_mul_f32_e64 v47, -v139, s6                               // 000000006180: D105002F 20000D8B
	v_exp_f32_e32 v44, v44                                     // 000000006188: 7E58412C
	v_exp_f32_e32 v45, v45                                     // 00000000618C: 7E5A412D
	v_exp_f32_e32 v46, v46                                     // 000000006190: 7E5C412E
	v_exp_f32_e32 v47, v47                                     // 000000006194: 7E5E412F
	buffer_load_dwordx4 a[20:23], v35, s[12:15], 0 offen       // 000000006198: E05C1000 80831423
	v_add_f32_e64 v44, v44, 1.0                                // 0000000061A0: D101002C 0001E52C
	v_add_f32_e64 v45, v45, 1.0                                // 0000000061A8: D101002D 0001E52D
	v_add_f32_e64 v46, v46, 1.0                                // 0000000061B0: D101002E 0001E52E
	v_add_f32_e64 v47, v47, 1.0                                // 0000000061B8: D101002F 0001E52F
	v_rcp_f32_e32 v44, v44                                     // 0000000061C0: 7E58452C
	v_rcp_f32_e32 v45, v45                                     // 0000000061C4: 7E5A452D
	v_rcp_f32_e32 v46, v46                                     // 0000000061C8: 7E5C452E
	v_rcp_f32_e32 v47, v47                                     // 0000000061CC: 7E5E452F
	v_mul_f32_e32 v136, v136, v44                              // 0000000061D0: 0B105988
	v_mul_f32_e32 v137, v137, v45                              // 0000000061D4: 0B125B89
	v_mul_f32_e32 v138, v138, v46                              // 0000000061D8: 0B145D8A
	v_mul_f32_e32 v139, v139, v47                              // 0000000061DC: 0B165F8B
	v_mul_f32_e32 v136, v136, v72                              // 0000000061E0: 0B109188
	v_mul_f32_e32 v137, v137, v73                              // 0000000061E4: 0B129389
	v_mul_f32_e32 v138, v138, v74                              // 0000000061E8: 0B14958A
	v_mul_f32_e32 v139, v139, v75                              // 0000000061EC: 0B16978B
	buffer_load_dwordx4 a[24:27], v36, s[12:15], 0 offen       // 0000000061F0: E05C1000 80831824
	v_mul_f32_e64 v44, -v140, s6                               // 0000000061F8: D105002C 20000D8C
	v_mul_f32_e64 v45, -v141, s6                               // 000000006200: D105002D 20000D8D
	v_mul_f32_e64 v46, -v142, s6                               // 000000006208: D105002E 20000D8E
	v_mul_f32_e64 v47, -v143, s6                               // 000000006210: D105002F 20000D8F
	v_exp_f32_e32 v44, v44                                     // 000000006218: 7E58412C
	v_exp_f32_e32 v45, v45                                     // 00000000621C: 7E5A412D
	v_exp_f32_e32 v46, v46                                     // 000000006220: 7E5C412E
	v_exp_f32_e32 v47, v47                                     // 000000006224: 7E5E412F
	buffer_load_dwordx4 a[28:31], v37, s[12:15], 0 offen       // 000000006228: E05C1000 80831C25
	v_add_f32_e64 v44, v44, 1.0                                // 000000006230: D101002C 0001E52C
	v_add_f32_e64 v45, v45, 1.0                                // 000000006238: D101002D 0001E52D
	v_add_f32_e64 v46, v46, 1.0                                // 000000006240: D101002E 0001E52E
	v_add_f32_e64 v47, v47, 1.0                                // 000000006248: D101002F 0001E52F
	v_rcp_f32_e32 v44, v44                                     // 000000006250: 7E58452C
	v_rcp_f32_e32 v45, v45                                     // 000000006254: 7E5A452D
	v_rcp_f32_e32 v46, v46                                     // 000000006258: 7E5C452E
	v_rcp_f32_e32 v47, v47                                     // 00000000625C: 7E5E452F
	v_mul_f32_e32 v140, v140, v44                              // 000000006260: 0B18598C
	v_mul_f32_e32 v141, v141, v45                              // 000000006264: 0B1A5B8D
	v_mul_f32_e32 v142, v142, v46                              // 000000006268: 0B1C5D8E
	v_mul_f32_e32 v143, v143, v47                              // 00000000626C: 0B1E5F8F
	v_mul_f32_e32 v140, v140, v76                              // 000000006270: 0B18998C
	v_mul_f32_e32 v141, v141, v77                              // 000000006274: 0B1A9B8D
	v_mul_f32_e32 v142, v142, v78                              // 000000006278: 0B1C9D8E
	v_mul_f32_e32 v143, v143, v79                              // 00000000627C: 0B1E9F8F
	v_lshlrev_b32_e32 v44, 2, v0                               // 000000006280: 24580082
	s_mul_i32 s60, s82, s71                                    // 000000006284: 923C4752
	v_add_u32_e64 v80, v44, s60                                // 000000006288: D1340050 0000792C
	v_mov_b32_e32 v81, 0                                       // 000000006290: 7EA20280
	s_mul_i32 s60, s83, s71                                    // 000000006294: 923C4753
	v_add_u32_e64 v82, v44, s60                                // 000000006298: D1340052 0000792C
	v_mov_b32_e32 v83, 0                                       // 0000000062A0: 7EA60280
	s_mul_i32 s60, s84, s71                                    // 0000000062A4: 923C4754
	v_add_u32_e64 v84, v44, s60                                // 0000000062A8: D1340054 0000792C
	v_mov_b32_e32 v85, 0                                       // 0000000062B0: 7EAA0280
	s_mul_i32 s60, s85, s71                                    // 0000000062B4: 923C4755
	v_add_u32_e64 v86, v44, s60                                // 0000000062B8: D1340056 0000792C
	v_mov_b32_e32 v87, 0                                       // 0000000062C0: 7EAE0280
	s_mul_i32 s60, s86, s71                                    // 0000000062C4: 923C4756
	v_add_u32_e64 v88, v44, s60                                // 0000000062C8: D1340058 0000792C
	v_mov_b32_e32 v89, 0                                       // 0000000062D0: 7EB20280
	s_mul_i32 s60, s87, s71                                    // 0000000062D4: 923C4757
	v_add_u32_e64 v90, v44, s60                                // 0000000062D8: D134005A 0000792C
	v_mov_b32_e32 v91, 0                                       // 0000000062E0: 7EB60280
	s_mul_i32 s60, s88, s71                                    // 0000000062E4: 923C4758
	v_add_u32_e64 v92, v44, s60                                // 0000000062E8: D134005C 0000792C
	v_mov_b32_e32 v93, 0                                       // 0000000062F0: 7EBA0280
	s_mul_i32 s60, s89, s71                                    // 0000000062F4: 923C4759
	v_add_u32_e64 v94, v44, s60                                // 0000000062F8: D134005E 0000792C
	v_mov_b32_e32 v95, 0                                       // 000000006300: 7EBE0280
	buffer_load_dword v11, v5, s[16:19], 0 offen               // 000000006304: E0501000 80040B05
	v_mov_b32_e32 v20, 0x358637bd                              // 00000000630C: 7E2802FF 358637BD
	v_mov_b32_e32 v21, 0x358637bd                              // 000000006314: 7E2A02FF 358637BD
	v_max3_f32 v20, |v128|, |v129|, v20                        // 00000000631C: D1D30314 04530380
	v_max3_f32 v20, |v130|, |v131|, v20                        // 000000006324: D1D30314 04530782
	v_max3_f32 v21, |v132|, |v133|, v21                        // 00000000632C: D1D30315 04570B84
	v_max3_f32 v21, |v134|, |v135|, v21                        // 000000006334: D1D30315 04570F86
	v_max3_f32 v20, |v136|, |v137|, v20                        // 00000000633C: D1D30314 04531388
	v_max3_f32 v20, |v138|, |v139|, v20                        // 000000006344: D1D30314 0453178A
	v_max3_f32 v21, |v140|, |v141|, v21                        // 00000000634C: D1D30315 04571B8C
	v_max3_f32 v21, |v142|, |v143|, v21                        // 000000006354: D1D30315 04571F8E
	v_lshlrev_b32_e32 v44, 3, v0                               // 00000000635C: 24580083
	s_mul_i32 s60, 0x200, s7                                   // 000000006360: 923C07FF 00000200
	v_add_u32_e32 v44, s60, v44                                // 000000006368: 6858583C
	ds_write_b64 v44, v[20:21] offset:16640                    // 00000000636C: D89A4100 0000142C
	s_waitcnt lgkmcnt(0)                                       // 000000006374: BF8CC07F
	s_barrier                                                  // 000000006378: BF8A0000
	v_and_b32_e32 v44, 15, v0                                  // 00000000637C: 2658008F
	v_lshlrev_b32_e32 v44, 3, v44                              // 000000006380: 24585883
	ds_read_b64 v[96:97], v44 offset:16640                     // 000000006384: D8EC4100 6000002C
	ds_read_b64 v[98:99], v44 offset:16768                     // 00000000638C: D8EC4180 6200002C
	ds_read_b64 v[100:101], v44 offset:16896                   // 000000006394: D8EC4200 6400002C
	ds_read_b64 v[102:103], v44 offset:17024                   // 00000000639C: D8EC4280 6600002C
	ds_read_b64 v[104:105], v44 offset:17152                   // 0000000063A4: D8EC4300 6800002C
	ds_read_b64 v[106:107], v44 offset:17280                   // 0000000063AC: D8EC4380 6A00002C
	ds_read_b64 v[108:109], v44 offset:17408                   // 0000000063B4: D8EC4400 6C00002C
	ds_read_b64 v[110:111], v44 offset:17536                   // 0000000063BC: D8EC4480 6E00002C
	ds_read_b64 v[112:113], v44 offset:17664                   // 0000000063C4: D8EC4500 7000002C
	ds_read_b64 v[114:115], v44 offset:17792                   // 0000000063CC: D8EC4580 7200002C
	ds_read_b64 v[116:117], v44 offset:17920                   // 0000000063D4: D8EC4600 7400002C
	ds_read_b64 v[118:119], v44 offset:18048                   // 0000000063DC: D8EC4680 7600002C
	ds_read_b64 v[120:121], v44 offset:18176                   // 0000000063E4: D8EC4700 7800002C
	ds_read_b64 v[122:123], v44 offset:18304                   // 0000000063EC: D8EC4780 7A00002C
	ds_read_b64 v[124:125], v44 offset:18432                   // 0000000063F4: D8EC4800 7C00002C
	ds_read_b64 v[126:127], v44 offset:18560                   // 0000000063FC: D8EC4880 7E00002C
	s_waitcnt lgkmcnt(0)                                       // 000000006404: BF8CC07F
	v_max3_f32 v20, |v96|, |v98|, v20                          // 000000006408: D1D30314 0452C560
	v_max3_f32 v21, |v97|, |v99|, v21                          // 000000006410: D1D30315 0456C761
	v_max3_f32 v20, |v100|, |v102|, v20                        // 000000006418: D1D30314 0452CD64
	v_max3_f32 v21, |v101|, |v103|, v21                        // 000000006420: D1D30315 0456CF65
	v_max3_f32 v20, |v104|, |v106|, v20                        // 000000006428: D1D30314 0452D568
	v_max3_f32 v21, |v105|, |v107|, v21                        // 000000006430: D1D30315 0456D769
	v_max3_f32 v20, |v108|, |v110|, v20                        // 000000006438: D1D30314 0452DD6C
	v_max3_f32 v21, |v109|, |v111|, v21                        // 000000006440: D1D30315 0456DF6D
	v_max3_f32 v20, |v112|, |v114|, v20                        // 000000006448: D1D30314 0452E570
	v_max3_f32 v21, |v113|, |v115|, v21                        // 000000006450: D1D30315 0456E771
	v_max3_f32 v20, |v116|, |v118|, v20                        // 000000006458: D1D30314 0452ED74
	v_max3_f32 v21, |v117|, |v119|, v21                        // 000000006460: D1D30315 0456EF75
	v_max3_f32 v20, |v120|, |v122|, v20                        // 000000006468: D1D30314 0452F578
	v_max3_f32 v21, |v121|, |v123|, v21                        // 000000006470: D1D30315 0456F779
	v_max3_f32 v20, |v124|, |v126|, v20                        // 000000006478: D1D30314 0452FD7C
	v_max3_f32 v21, |v125|, |v127|, v21                        // 000000006480: D1D30315 0456FF7D
	v_rcp_f32_e32 v20, v20                                     // 000000006488: 7E284514
	v_rcp_f32_e32 v21, v21                                     // 00000000648C: 7E2A4515
	v_mov_b32_e32 v44, 0x43e00000                              // 000000006490: 7E5802FF 43E00000
	v_mul_f32_e32 v20, v44, v20                                // 000000006498: 0A28292C
	v_mul_f32_e32 v21, v44, v21                                // 00000000649C: 0A2A2B2C
	v_mul_f32_e32 v128, v20, v128                              // 0000000064A0: 0B010114
	v_mul_f32_e32 v129, v20, v129                              // 0000000064A4: 0B030314
	v_mul_f32_e32 v130, v20, v130                              // 0000000064A8: 0B050514
	v_mul_f32_e32 v131, v20, v131                              // 0000000064AC: 0B070714
	v_cvt_pk_fp8_f32 v128, v128, v129                          // 0000000064B0: D2A20080 00030380
	v_cvt_pk_fp8_f32 v128, v130, v131 op_sel:[0,0,1]           // 0000000064B8: D2A24080 00030782
	v_mul_f32_e32 v132, v21, v132                              // 0000000064C0: 0B090915
	v_mul_f32_e32 v133, v21, v133                              // 0000000064C4: 0B0B0B15
	v_mul_f32_e32 v134, v21, v134                              // 0000000064C8: 0B0D0D15
	v_mul_f32_e32 v135, v21, v135                              // 0000000064CC: 0B0F0F15
	v_cvt_pk_fp8_f32 v129, v132, v133                          // 0000000064D0: D2A20081 00030B84
	v_cvt_pk_fp8_f32 v129, v134, v135 op_sel:[0,0,1]           // 0000000064D8: D2A24081 00030F86
	v_mul_f32_e32 v136, v20, v136                              // 0000000064E0: 0B111114
	v_mul_f32_e32 v137, v20, v137                              // 0000000064E4: 0B131314
	v_mul_f32_e32 v138, v20, v138                              // 0000000064E8: 0B151514
	v_mul_f32_e32 v139, v20, v139                              // 0000000064EC: 0B171714
	v_cvt_pk_fp8_f32 v130, v136, v137                          // 0000000064F0: D2A20082 00031388
	v_cvt_pk_fp8_f32 v130, v138, v139 op_sel:[0,0,1]           // 0000000064F8: D2A24082 0003178A
	v_mul_f32_e32 v140, v21, v140                              // 000000006500: 0B191915
	v_mul_f32_e32 v141, v21, v141                              // 000000006504: 0B1B1B15
	v_mul_f32_e32 v142, v21, v142                              // 000000006508: 0B1D1D15
	v_mul_f32_e32 v143, v21, v143                              // 00000000650C: 0B1F1F15
	v_cvt_pk_fp8_f32 v131, v140, v141                          // 000000006510: D2A20083 00031B8C
	v_cvt_pk_fp8_f32 v131, v142, v143 op_sel:[0,0,1]           // 000000006518: D2A24083 00031F8E
	v_rcp_f32_e32 v22, v20                                     // 000000006520: 7E2C4514
	v_rcp_f32_e32 v23, v21                                     // 000000006524: 7E2E4515
	v_lshrrev_b32_e32 v44, 5, v0                               // 000000006528: 20580085
	v_lshlrev_b32_e32 v45, 5, v44                              // 00000000652C: 245A5885
	v_and_b32_e32 v44, 31, v0                                  // 000000006530: 2658009F
	v_lshrrev_b32_e32 v46, 4, v44                              // 000000006534: 205C5884
	v_add_u32_e32 v45, v46, v45                                // 000000006538: 685A5B2E
	v_and_b32_e32 v44, 15, v0                                  // 00000000653C: 2658008F
	v_lshlrev_b32_e32 v44, 1, v44                              // 000000006540: 24585881
	v_add_u32_e32 v45, v44, v45                                // 000000006544: 685A5B2C
	v_lshlrev_b32_e32 v44, 2, v45                              // 000000006548: 24585A82
	s_mul_i32 s60, 0x100, s7                                   // 00000000654C: 923C07FF 00000100
	v_add_u32_e64 v44, v44, s60                                // 000000006554: D134002C 0000792C
	ds_write_b32 v44, v128 offset:18688                        // 00000000655C: D81A4900 0000802C
	ds_write_b32 v44, v129 offset:20736                        // 000000006564: D81A5100 0000812C
	ds_write_b32 v44, v130 offset:19712                        // 00000000656C: D81A4D00 0000822C
	ds_write_b32 v44, v131 offset:21760                        // 000000006574: D81A5500 0000832C
	s_waitcnt lgkmcnt(0)                                       // 00000000657C: BF8CC07F
	s_barrier                                                  // 000000006580: BF8A0000
	v_lshrrev_b32_e32 v44, 4, v0                               // 000000006584: 20580084
	v_lshlrev_b32_e32 v45, 6, v44                              // 000000006588: 245A5886
	v_and_b32_e32 v44, 15, v0                                  // 00000000658C: 2658008F
	v_lshlrev_b32_e32 v44, 1, v44                              // 000000006590: 24585881
	v_add_u32_e32 v45, v44, v45                                // 000000006594: 685A5B2C
	v_lshlrev_b32_e32 v44, 2, v45                              // 000000006598: 24585A82
	ds_read_b64 v[128:129], v44 offset:18688                   // 00000000659C: D8EC4900 8000002C
	ds_read_b64 v[130:131], v44 offset:18816                   // 0000000065A4: D8EC4980 8200002C
	ds_read_b64 v[132:133], v44 offset:19712                   // 0000000065AC: D8EC4D00 8400002C
	ds_read_b64 v[134:135], v44 offset:19840                   // 0000000065B4: D8EC4D80 8600002C
	ds_read_b64 v[136:137], v44 offset:20736                   // 0000000065BC: D8EC5100 8800002C
	ds_read_b64 v[138:139], v44 offset:20864                   // 0000000065C4: D8EC5180 8A00002C
	ds_read_b64 v[140:141], v44 offset:21760                   // 0000000065CC: D8EC5500 8C00002C
	ds_read_b64 v[142:143], v44 offset:21888                   // 0000000065D4: D8EC5580 8E00002C
	s_add_u32 s12, s56, s12                                    // 0000000065DC: 800C0C38
	s_addc_u32 s13, 0, s13                                     // 0000000065E0: 820D0D80
	s_add_u32 s16, s79, s16                                    // 0000000065E4: 8010104F
	s_addc_u32 s17, 0, s17                                     // 0000000065E8: 82111180
	s_waitcnt lgkmcnt(0)                                       // 0000000065EC: BF8CC07F
	s_barrier                                                  // 0000000065F0: BF8A0000
	v_mov_b32_e32 v144, 0                                      // 0000000065F4: 7F200280
	v_mov_b32_e32 v176, 0                                      // 0000000065F8: 7F600280
	v_mov_b32_e32 v145, 0                                      // 0000000065FC: 7F220280
	v_mov_b32_e32 v177, 0                                      // 000000006600: 7F620280
	v_mov_b32_e32 v146, 0                                      // 000000006604: 7F240280
	v_mov_b32_e32 v178, 0                                      // 000000006608: 7F640280
	v_mov_b32_e32 v147, 0                                      // 00000000660C: 7F260280
	v_mov_b32_e32 v179, 0                                      // 000000006610: 7F660280
	v_mov_b32_e32 v148, 0                                      // 000000006614: 7F280280
	v_mov_b32_e32 v180, 0                                      // 000000006618: 7F680280
	v_mov_b32_e32 v149, 0                                      // 00000000661C: 7F2A0280
	v_mov_b32_e32 v181, 0                                      // 000000006620: 7F6A0280
	v_mov_b32_e32 v150, 0                                      // 000000006624: 7F2C0280
	v_mov_b32_e32 v182, 0                                      // 000000006628: 7F6C0280
	v_mov_b32_e32 v151, 0                                      // 00000000662C: 7F2E0280
	v_mov_b32_e32 v183, 0                                      // 000000006630: 7F6E0280
	v_mov_b32_e32 v152, 0                                      // 000000006634: 7F300280
	v_mov_b32_e32 v184, 0                                      // 000000006638: 7F700280
	v_mov_b32_e32 v153, 0                                      // 00000000663C: 7F320280
	v_mov_b32_e32 v185, 0                                      // 000000006640: 7F720280
	v_mov_b32_e32 v154, 0                                      // 000000006644: 7F340280
	v_mov_b32_e32 v186, 0                                      // 000000006648: 7F740280
	v_mov_b32_e32 v155, 0                                      // 00000000664C: 7F360280
	v_mov_b32_e32 v187, 0                                      // 000000006650: 7F760280
	v_mov_b32_e32 v156, 0                                      // 000000006654: 7F380280
	v_mov_b32_e32 v188, 0                                      // 000000006658: 7F780280
	v_mov_b32_e32 v157, 0                                      // 00000000665C: 7F3A0280
	v_mov_b32_e32 v189, 0                                      // 000000006660: 7F7A0280
	v_mov_b32_e32 v158, 0                                      // 000000006664: 7F3C0280
	v_mov_b32_e32 v190, 0                                      // 000000006668: 7F7C0280
	v_mov_b32_e32 v159, 0                                      // 00000000666C: 7F3E0280
	v_mov_b32_e32 v191, 0                                      // 000000006670: 7F7E0280
	ds_write_b64 v3, v[144:145] offset:18688                   // 000000006674: D89A4900 00009003
	ds_write_b64 v3, v[146:147] offset:27392                   // 00000000667C: D89A6B00 00009203
	ds_write_b64 v3, v[148:149] offset:20864                   // 000000006684: D89A5180 00009403
	ds_write_b64 v3, v[150:151] offset:29568                   // 00000000668C: D89A7380 00009603
	ds_write_b64 v3, v[152:153] offset:23040                   // 000000006694: D89A5A00 00009803
	ds_write_b64 v3, v[154:155] offset:31744                   // 00000000669C: D89A7C00 00009A03
	ds_write_b64 v3, v[156:157] offset:25216                   // 0000000066A4: D89A6280 00009C03
	ds_write_b64 v3, v[158:159] offset:33920                   // 0000000066AC: D89A8480 00009E03
	s_mov_b32 s80, 0                                           // 0000000066B4: BED00080
	s_waitcnt vmcnt(0) expcnt(0) lgkmcnt(0)                    // 0000000066B8: BF8C0000

00000000000066bc <label_0E2F>:
	s_waitcnt vmcnt(5) lgkmcnt(0)                              // 0000000066BC: BF8C0075
	s_barrier                                                  // 0000000066C0: BF8A0000
	v_mfma_f32_16x16x32_fp8_fp8 v[144:147], a[0:1], v[128:129], 0// 0000000066C4: D3F30090 0A030100
	buffer_load_dwordx4 a[32:35], v34, s[12:15], 0 offen       // 0000000066CC: E05C1000 80832022
	v_mfma_f32_16x16x32_fp8_fp8 v[144:147], a[2:3], v[130:131], v[144:147]// 0000000066D4: D3F30090 0E430502
	ds_read_b32 v64, v4 offset:18688                           // 0000000066DC: D86C4900 40000004
	ds_read_b32 v65, v4 offset:23040                           // 0000000066E4: D86C5A00 41000004
	v_mfma_f32_16x16x32_fp8_fp8 v[148:151], a[0:1], v[136:137], 0// 0000000066EC: D3F30094 0A031100
	v_mfma_f32_16x16x32_fp8_fp8 v[148:151], a[2:3], v[138:139], v[148:151]// 0000000066F4: D3F30094 0E531502
	ds_read_b32 v66, v4 offset:18720                           // 0000000066FC: D86C4920 42000004
	ds_read_b32 v67, v4 offset:23072                           // 000000006704: D86C5A20 43000004
	v_mfma_f32_16x16x32_fp8_fp8 v[152:155], a[4:5], v[128:129], 0// 00000000670C: D3F30098 0A030104
	buffer_load_dwordx4 a[36:39], v35, s[12:15], 0 offen       // 000000006714: E05C1000 80832423
	v_mfma_f32_16x16x32_fp8_fp8 v[152:155], a[6:7], v[130:131], v[152:155]// 00000000671C: D3F30098 0E630506
	ds_read_b32 v68, v4 offset:18752                           // 000000006724: D86C4940 44000004
	ds_read_b32 v69, v4 offset:23104                           // 00000000672C: D86C5A40 45000004
	v_mfma_f32_16x16x32_fp8_fp8 v[156:159], a[4:5], v[136:137], 0// 000000006734: D3F3009C 0A031104
	v_mfma_f32_16x16x32_fp8_fp8 v[156:159], a[6:7], v[138:139], v[156:159]// 00000000673C: D3F3009C 0E731506
	ds_read_b32 v70, v4 offset:18784                           // 000000006744: D86C4960 46000004
	ds_read_b32 v71, v4 offset:23136                           // 00000000674C: D86C5A60 47000004
	v_mfma_f32_16x16x32_fp8_fp8 v[160:163], a[8:9], v[128:129], 0// 000000006754: D3F300A0 0A030108
	buffer_load_dwordx4 a[40:43], v36, s[12:15], 0 offen       // 00000000675C: E05C1000 80832824
	v_mfma_f32_16x16x32_fp8_fp8 v[160:163], a[10:11], v[130:131], v[160:163]// 000000006764: D3F300A0 0E83050A
	ds_read_b32 v72, v4 offset:27392                           // 00000000676C: D86C6B00 48000004
	ds_read_b32 v73, v4 offset:31744                           // 000000006774: D86C7C00 49000004
	v_mfma_f32_16x16x32_fp8_fp8 v[164:167], a[8:9], v[136:137], 0// 00000000677C: D3F300A4 0A031108
	v_mfma_f32_16x16x32_fp8_fp8 v[164:167], a[10:11], v[138:139], v[164:167]// 000000006784: D3F300A4 0E93150A
	ds_read_b32 v74, v4 offset:27424                           // 00000000678C: D86C6B20 4A000004
	ds_read_b32 v75, v4 offset:31776                           // 000000006794: D86C7C20 4B000004
	v_mfma_f32_16x16x32_fp8_fp8 v[168:171], a[12:13], v[128:129], 0// 00000000679C: D3F300A8 0A03010C
	buffer_load_dwordx4 a[44:47], v37, s[12:15], 0 offen       // 0000000067A4: E05C1000 80832C25
	s_add_u32 s12, s78, s12                                    // 0000000067AC: 800C0C4E
	s_addc_u32 s13, 0, s13                                     // 0000000067B0: 820D0D80
	v_mfma_f32_16x16x32_fp8_fp8 v[168:171], a[14:15], v[130:131], v[168:171]// 0000000067B4: D3F300A8 0EA3050E
	ds_read_b32 v76, v4 offset:27456                           // 0000000067BC: D86C6B40 4C000004
	ds_read_b32 v77, v4 offset:31808                           // 0000000067C4: D86C7C40 4D000004
	v_mfma_f32_16x16x32_fp8_fp8 v[172:175], a[12:13], v[136:137], 0// 0000000067CC: D3F300AC 0A03110C
	v_mfma_f32_16x16x32_fp8_fp8 v[172:175], a[14:15], v[138:139], v[172:175]// 0000000067D4: D3F300AC 0EB3150E
	ds_read_b32 v78, v4 offset:27488                           // 0000000067DC: D86C6B60 4E000004
	ds_read_b32 v79, v4 offset:31840                           // 0000000067E4: D86C7C60 4F000004
	s_waitcnt vmcnt(4)                                         // 0000000067EC: BF8C0F74
	v_mfma_f32_16x16x32_fp8_fp8 v[144:147], a[16:17], v[132:133], v[144:147]// 0000000067F0: D3F30090 0E430910
	buffer_load_dwordx4 a[48:51], v34, s[12:15], 0 offen       // 0000000067F8: E05C1000 80833022
	v_mfma_f32_16x16x32_fp8_fp8 v[144:147], a[18:19], v[134:135], v[144:147]// 000000006800: D3F30090 0E430D12
	v_mfma_f32_16x16x32_fp8_fp8 v[148:151], a[16:17], v[140:141], v[148:151]// 000000006808: D3F30094 0E531910
	buffer_load_dword v12, v5, s[16:19], 0 offen               // 000000006810: E0501000 80040C05
	v_mfma_f32_16x16x32_fp8_fp8 v[148:151], a[18:19], v[142:143], v[148:151]// 000000006818: D3F30094 0E531D12
	v_mfma_f32_16x16x32_fp8_fp8 v[152:155], a[20:21], v[132:133], v[152:155]// 000000006820: D3F30098 0E630914
	buffer_load_dwordx4 a[52:55], v35, s[12:15], 0 offen       // 000000006828: E05C1000 80833423
	v_mfma_f32_16x16x32_fp8_fp8 v[152:155], a[22:23], v[134:135], v[152:155]// 000000006830: D3F30098 0E630D16
	v_mfma_f32_16x16x32_fp8_fp8 v[156:159], a[20:21], v[140:141], v[156:159]// 000000006838: D3F3009C 0E731914
	v_mfma_f32_16x16x32_fp8_fp8 v[156:159], a[22:23], v[142:143], v[156:159]// 000000006840: D3F3009C 0E731D16
	v_mfma_f32_16x16x32_fp8_fp8 v[160:163], a[24:25], v[132:133], v[160:163]// 000000006848: D3F300A0 0E830918
	buffer_load_dwordx4 a[56:59], v36, s[12:15], 0 offen       // 000000006850: E05C1000 80833824
	v_mfma_f32_16x16x32_fp8_fp8 v[160:163], a[26:27], v[134:135], v[160:163]// 000000006858: D3F300A0 0E830D1A
	v_mfma_f32_16x16x32_fp8_fp8 v[164:167], a[24:25], v[140:141], v[164:167]// 000000006860: D3F300A4 0E931918
	v_mfma_f32_16x16x32_fp8_fp8 v[164:167], a[26:27], v[142:143], v[164:167]// 000000006868: D3F300A4 0E931D1A
	v_mfma_f32_16x16x32_fp8_fp8 v[168:171], a[28:29], v[132:133], v[168:171]// 000000006870: D3F300A8 0EA3091C
	buffer_load_dwordx4 a[60:63], v37, s[12:15], 0 offen       // 000000006878: E05C1000 80833C25
	v_mfma_f32_16x16x32_fp8_fp8 v[168:171], a[30:31], v[134:135], v[168:171]// 000000006880: D3F300A8 0EA30D1E
	v_mfma_f32_16x16x32_fp8_fp8 v[172:175], a[28:29], v[140:141], v[172:175]// 000000006888: D3F300AC 0EB3191C
	v_mfma_f32_16x16x32_fp8_fp8 v[172:175], a[30:31], v[142:143], v[172:175]// 000000006890: D3F300AC 0EB31D1E
	s_add_u32 s60, 0x200, s80                                  // 000000006898: 803C50FF 00000200
	s_cmp_lt_u32 s60, s81                                      // 0000000068A0: BF0A513C
	s_cselect_b32 s56, s56, 0                                  // 0000000068A4: 85388038
	s_cselect_b32 s78, s78, 0                                  // 0000000068A8: 854E804E
	s_cselect_b32 s79, s79, 0                                  // 0000000068AC: 854F804F
	s_add_u32 s12, s56, s12                                    // 0000000068B0: 800C0C38
	s_addc_u32 s13, 0, s13                                     // 0000000068B4: 820D0D80
	s_add_u32 s16, s79, s16                                    // 0000000068B8: 8010104F
	s_addc_u32 s17, 0, s17                                     // 0000000068BC: 82111180
	v_mul_f32_e32 v144, v22, v144                              // 0000000068C0: 0B212116
	v_mul_f32_e32 v145, v22, v145                              // 0000000068C4: 0B232316
	v_mul_f32_e32 v146, v22, v146                              // 0000000068C8: 0B252516
	v_mul_f32_e32 v147, v22, v147                              // 0000000068CC: 0B272716
	v_mul_f32_dpp v144, v11, v144 row_newbcast:0 row_mask:0xf bank_mask:0xf// 0000000068D0: 0B2120FA FF01500B
	v_mul_f32_dpp v145, v11, v145 row_newbcast:1 row_mask:0xf bank_mask:0xf// 0000000068D8: 0B2322FA FF01510B
	v_mul_f32_dpp v146, v11, v146 row_newbcast:2 row_mask:0xf bank_mask:0xf// 0000000068E0: 0B2524FA FF01520B
	v_mul_f32_dpp v147, v11, v147 row_newbcast:3 row_mask:0xf bank_mask:0xf// 0000000068E8: 0B2726FA FF01530B
	v_mul_f32_e32 v144, v17, v144                              // 0000000068F0: 0B212111
	v_mul_f32_e32 v145, v17, v145                              // 0000000068F4: 0B232311
	v_mul_f32_e32 v146, v17, v146                              // 0000000068F8: 0B252511
	v_mul_f32_e32 v147, v17, v147                              // 0000000068FC: 0B272711
	v_mul_f32_e32 v148, v23, v148                              // 000000006900: 0B292917
	v_mul_f32_e32 v149, v23, v149                              // 000000006904: 0B2B2B17
	v_mul_f32_e32 v150, v23, v150                              // 000000006908: 0B2D2D17
	v_mul_f32_e32 v151, v23, v151                              // 00000000690C: 0B2F2F17
	v_mul_f32_dpp v148, v11, v148 row_newbcast:0 row_mask:0xf bank_mask:0xf// 000000006910: 0B2928FA FF01500B
	v_mul_f32_dpp v149, v11, v149 row_newbcast:1 row_mask:0xf bank_mask:0xf// 000000006918: 0B2B2AFA FF01510B
	v_mul_f32_dpp v150, v11, v150 row_newbcast:2 row_mask:0xf bank_mask:0xf// 000000006920: 0B2D2CFA FF01520B
	v_mul_f32_dpp v151, v11, v151 row_newbcast:3 row_mask:0xf bank_mask:0xf// 000000006928: 0B2F2EFA FF01530B
	v_mul_f32_e32 v148, v18, v148                              // 000000006930: 0B292912
	v_mul_f32_e32 v149, v18, v149                              // 000000006934: 0B2B2B12
	v_mul_f32_e32 v150, v18, v150                              // 000000006938: 0B2D2D12
	v_mul_f32_e32 v151, v18, v151                              // 00000000693C: 0B2F2F12
	v_mul_f32_e32 v152, v22, v152                              // 000000006940: 0B313116
	v_mul_f32_e32 v153, v22, v153                              // 000000006944: 0B333316
	v_mul_f32_e32 v154, v22, v154                              // 000000006948: 0B353516
	v_mul_f32_e32 v155, v22, v155                              // 00000000694C: 0B373716
	v_mul_f32_dpp v152, v11, v152 row_newbcast:4 row_mask:0xf bank_mask:0xf// 000000006950: 0B3130FA FF01540B
	v_mul_f32_dpp v153, v11, v153 row_newbcast:5 row_mask:0xf bank_mask:0xf// 000000006958: 0B3332FA FF01550B
	v_mul_f32_dpp v154, v11, v154 row_newbcast:6 row_mask:0xf bank_mask:0xf// 000000006960: 0B3534FA FF01560B
	v_mul_f32_dpp v155, v11, v155 row_newbcast:7 row_mask:0xf bank_mask:0xf// 000000006968: 0B3736FA FF01570B
	v_mul_f32_e32 v152, v17, v152                              // 000000006970: 0B313111
	v_mul_f32_e32 v153, v17, v153                              // 000000006974: 0B333311
	v_mul_f32_e32 v154, v17, v154                              // 000000006978: 0B353511
	v_mul_f32_e32 v155, v17, v155                              // 00000000697C: 0B373711
	v_mul_f32_e32 v156, v23, v156                              // 000000006980: 0B393917
	v_mul_f32_e32 v157, v23, v157                              // 000000006984: 0B3B3B17
	v_mul_f32_e32 v158, v23, v158                              // 000000006988: 0B3D3D17
	v_mul_f32_e32 v159, v23, v159                              // 00000000698C: 0B3F3F17
	v_mul_f32_dpp v156, v11, v156 row_newbcast:4 row_mask:0xf bank_mask:0xf// 000000006990: 0B3938FA FF01540B
	v_mul_f32_dpp v157, v11, v157 row_newbcast:5 row_mask:0xf bank_mask:0xf// 000000006998: 0B3B3AFA FF01550B
	v_mul_f32_dpp v158, v11, v158 row_newbcast:6 row_mask:0xf bank_mask:0xf// 0000000069A0: 0B3D3CFA FF01560B
	v_mul_f32_dpp v159, v11, v159 row_newbcast:7 row_mask:0xf bank_mask:0xf// 0000000069A8: 0B3F3EFA FF01570B
	v_mul_f32_e32 v156, v18, v156                              // 0000000069B0: 0B393912
	v_mul_f32_e32 v157, v18, v157                              // 0000000069B4: 0B3B3B12
	v_mul_f32_e32 v158, v18, v158                              // 0000000069B8: 0B3D3D12
	v_mul_f32_e32 v159, v18, v159                              // 0000000069BC: 0B3F3F12
	v_mul_f32_e32 v160, v22, v160                              // 0000000069C0: 0B414116
	v_mul_f32_e32 v161, v22, v161                              // 0000000069C4: 0B434316
	v_mul_f32_e32 v162, v22, v162                              // 0000000069C8: 0B454516
	v_mul_f32_e32 v163, v22, v163                              // 0000000069CC: 0B474716
	v_mul_f32_dpp v160, v11, v160 row_newbcast:8 row_mask:0xf bank_mask:0xf// 0000000069D0: 0B4140FA FF01580B
	v_mul_f32_dpp v161, v11, v161 row_newbcast:9 row_mask:0xf bank_mask:0xf// 0000000069D8: 0B4342FA FF01590B
	v_mul_f32_dpp v162, v11, v162 row_newbcast:10 row_mask:0xf bank_mask:0xf// 0000000069E0: 0B4544FA FF015A0B
	v_mul_f32_dpp v163, v11, v163 row_newbcast:11 row_mask:0xf bank_mask:0xf// 0000000069E8: 0B4746FA FF015B0B
	v_mul_f32_e32 v160, v17, v160                              // 0000000069F0: 0B414111
	v_mul_f32_e32 v161, v17, v161                              // 0000000069F4: 0B434311
	v_mul_f32_e32 v162, v17, v162                              // 0000000069F8: 0B454511
	v_mul_f32_e32 v163, v17, v163                              // 0000000069FC: 0B474711
	v_mul_f32_e32 v164, v23, v164                              // 000000006A00: 0B494917
	v_mul_f32_e32 v165, v23, v165                              // 000000006A04: 0B4B4B17
	v_mul_f32_e32 v166, v23, v166                              // 000000006A08: 0B4D4D17
	v_mul_f32_e32 v167, v23, v167                              // 000000006A0C: 0B4F4F17
	v_mul_f32_dpp v164, v11, v164 row_newbcast:8 row_mask:0xf bank_mask:0xf// 000000006A10: 0B4948FA FF01580B
	v_mul_f32_dpp v165, v11, v165 row_newbcast:9 row_mask:0xf bank_mask:0xf// 000000006A18: 0B4B4AFA FF01590B
	v_mul_f32_dpp v166, v11, v166 row_newbcast:10 row_mask:0xf bank_mask:0xf// 000000006A20: 0B4D4CFA FF015A0B
	v_mul_f32_dpp v167, v11, v167 row_newbcast:11 row_mask:0xf bank_mask:0xf// 000000006A28: 0B4F4EFA FF015B0B
	v_mul_f32_e32 v164, v18, v164                              // 000000006A30: 0B494912
	v_mul_f32_e32 v165, v18, v165                              // 000000006A34: 0B4B4B12
	v_mul_f32_e32 v166, v18, v166                              // 000000006A38: 0B4D4D12
	v_mul_f32_e32 v167, v18, v167                              // 000000006A3C: 0B4F4F12
	v_mul_f32_e32 v168, v22, v168                              // 000000006A40: 0B515116
	v_mul_f32_e32 v169, v22, v169                              // 000000006A44: 0B535316
	v_mul_f32_e32 v170, v22, v170                              // 000000006A48: 0B555516
	v_mul_f32_e32 v171, v22, v171                              // 000000006A4C: 0B575716
	v_mul_f32_dpp v168, v11, v168 row_newbcast:12 row_mask:0xf bank_mask:0xf// 000000006A50: 0B5150FA FF015C0B
	v_mul_f32_dpp v169, v11, v169 row_newbcast:13 row_mask:0xf bank_mask:0xf// 000000006A58: 0B5352FA FF015D0B
	v_mul_f32_dpp v170, v11, v170 row_newbcast:14 row_mask:0xf bank_mask:0xf// 000000006A60: 0B5554FA FF015E0B
	v_mul_f32_dpp v171, v11, v171 row_newbcast:15 row_mask:0xf bank_mask:0xf// 000000006A68: 0B5756FA FF015F0B
	v_mul_f32_e32 v168, v17, v168                              // 000000006A70: 0B515111
	v_mul_f32_e32 v169, v17, v169                              // 000000006A74: 0B535311
	v_mul_f32_e32 v170, v17, v170                              // 000000006A78: 0B555511
	v_mul_f32_e32 v171, v17, v171                              // 000000006A7C: 0B575711
	v_mul_f32_e32 v172, v23, v172                              // 000000006A80: 0B595917
	v_mul_f32_e32 v173, v23, v173                              // 000000006A84: 0B5B5B17
	v_mul_f32_e32 v174, v23, v174                              // 000000006A88: 0B5D5D17
	v_mul_f32_e32 v175, v23, v175                              // 000000006A8C: 0B5F5F17
	v_mul_f32_dpp v172, v11, v172 row_newbcast:12 row_mask:0xf bank_mask:0xf// 000000006A90: 0B5958FA FF015C0B
	v_mul_f32_dpp v173, v11, v173 row_newbcast:13 row_mask:0xf bank_mask:0xf// 000000006A98: 0B5B5AFA FF015D0B
	v_mul_f32_dpp v174, v11, v174 row_newbcast:14 row_mask:0xf bank_mask:0xf// 000000006AA0: 0B5D5CFA FF015E0B
	v_mul_f32_dpp v175, v11, v175 row_newbcast:15 row_mask:0xf bank_mask:0xf// 000000006AA8: 0B5F5EFA FF015F0B
	v_mul_f32_e32 v172, v18, v172                              // 000000006AB0: 0B595912
	v_mul_f32_e32 v173, v18, v173                              // 000000006AB4: 0B5B5B12
	v_mul_f32_e32 v174, v18, v174                              // 000000006AB8: 0B5D5D12
	v_mul_f32_e32 v175, v18, v175                              // 000000006ABC: 0B5F5F12
	v_cmp_u_f32_e64 s[48:49], v144, v144                       // 000000006AC0: D0480030 00032190
	v_add3_u32 v38, v144, v41, 1                               // 000000006AC8: D1FF0026 02065390
	v_cndmask_b32_e64 v44, v38, v40, s[48:49]                  // 000000006AD0: D100002C 00C25126
	v_cmp_u_f32_e64 s[48:49], v145, v145                       // 000000006AD8: D0480030 00032391
	v_add3_u32 v38, v145, v41, 1                               // 000000006AE0: D1FF0026 02065391
	v_cndmask_b32_e64 v45, v38, v40, s[48:49]                  // 000000006AE8: D100002D 00C25126
	v_perm_b32 v144, v45, v44, s52                             // 000000006AF0: D1ED0090 00D2592D
	v_cmp_u_f32_e64 s[48:49], v146, v146                       // 000000006AF8: D0480030 00032592
	v_add3_u32 v38, v146, v41, 1                               // 000000006B00: D1FF0026 02065392
	v_cndmask_b32_e64 v44, v38, v40, s[48:49]                  // 000000006B08: D100002C 00C25126
	v_cmp_u_f32_e64 s[48:49], v147, v147                       // 000000006B10: D0480030 00032793
	v_add3_u32 v38, v147, v41, 1                               // 000000006B18: D1FF0026 02065393
	v_cndmask_b32_e64 v45, v38, v40, s[48:49]                  // 000000006B20: D100002D 00C25126
	v_perm_b32 v145, v45, v44, s52                             // 000000006B28: D1ED0091 00D2592D
	v_cmp_u_f32_e64 s[48:49], v148, v148                       // 000000006B30: D0480030 00032994
	v_add3_u32 v38, v148, v41, 1                               // 000000006B38: D1FF0026 02065394
	v_cndmask_b32_e64 v44, v38, v40, s[48:49]                  // 000000006B40: D100002C 00C25126
	v_cmp_u_f32_e64 s[48:49], v149, v149                       // 000000006B48: D0480030 00032B95
	v_add3_u32 v38, v149, v41, 1                               // 000000006B50: D1FF0026 02065395
	v_cndmask_b32_e64 v45, v38, v40, s[48:49]                  // 000000006B58: D100002D 00C25126
	v_perm_b32 v146, v45, v44, s52                             // 000000006B60: D1ED0092 00D2592D
	v_cmp_u_f32_e64 s[48:49], v150, v150                       // 000000006B68: D0480030 00032D96
	v_add3_u32 v38, v150, v41, 1                               // 000000006B70: D1FF0026 02065396
	v_cndmask_b32_e64 v44, v38, v40, s[48:49]                  // 000000006B78: D100002C 00C25126
	v_cmp_u_f32_e64 s[48:49], v151, v151                       // 000000006B80: D0480030 00032F97
	v_add3_u32 v38, v151, v41, 1                               // 000000006B88: D1FF0026 02065397
	v_cndmask_b32_e64 v45, v38, v40, s[48:49]                  // 000000006B90: D100002D 00C25126
	v_perm_b32 v147, v45, v44, s52                             // 000000006B98: D1ED0093 00D2592D
	v_cmp_u_f32_e64 s[48:49], v152, v152                       // 000000006BA0: D0480030 00033198
	v_add3_u32 v38, v152, v41, 1                               // 000000006BA8: D1FF0026 02065398
	v_cndmask_b32_e64 v44, v38, v40, s[48:49]                  // 000000006BB0: D100002C 00C25126
	v_cmp_u_f32_e64 s[48:49], v153, v153                       // 000000006BB8: D0480030 00033399
	v_add3_u32 v38, v153, v41, 1                               // 000000006BC0: D1FF0026 02065399
	v_cndmask_b32_e64 v45, v38, v40, s[48:49]                  // 000000006BC8: D100002D 00C25126
	v_perm_b32 v148, v45, v44, s52                             // 000000006BD0: D1ED0094 00D2592D
	v_cmp_u_f32_e64 s[48:49], v154, v154                       // 000000006BD8: D0480030 0003359A
	v_add3_u32 v38, v154, v41, 1                               // 000000006BE0: D1FF0026 0206539A
	v_cndmask_b32_e64 v44, v38, v40, s[48:49]                  // 000000006BE8: D100002C 00C25126
	v_cmp_u_f32_e64 s[48:49], v155, v155                       // 000000006BF0: D0480030 0003379B
	v_add3_u32 v38, v155, v41, 1                               // 000000006BF8: D1FF0026 0206539B
	v_cndmask_b32_e64 v45, v38, v40, s[48:49]                  // 000000006C00: D100002D 00C25126
	v_perm_b32 v149, v45, v44, s52                             // 000000006C08: D1ED0095 00D2592D
	v_cmp_u_f32_e64 s[48:49], v156, v156                       // 000000006C10: D0480030 0003399C
	v_add3_u32 v38, v156, v41, 1                               // 000000006C18: D1FF0026 0206539C
	v_cndmask_b32_e64 v44, v38, v40, s[48:49]                  // 000000006C20: D100002C 00C25126
	v_cmp_u_f32_e64 s[48:49], v157, v157                       // 000000006C28: D0480030 00033B9D
	v_add3_u32 v38, v157, v41, 1                               // 000000006C30: D1FF0026 0206539D
	v_cndmask_b32_e64 v45, v38, v40, s[48:49]                  // 000000006C38: D100002D 00C25126
	v_perm_b32 v150, v45, v44, s52                             // 000000006C40: D1ED0096 00D2592D
	v_cmp_u_f32_e64 s[48:49], v158, v158                       // 000000006C48: D0480030 00033D9E
	v_add3_u32 v38, v158, v41, 1                               // 000000006C50: D1FF0026 0206539E
	v_cndmask_b32_e64 v44, v38, v40, s[48:49]                  // 000000006C58: D100002C 00C25126
	v_cmp_u_f32_e64 s[48:49], v159, v159                       // 000000006C60: D0480030 00033F9F
	v_add3_u32 v38, v159, v41, 1                               // 000000006C68: D1FF0026 0206539F
	v_cndmask_b32_e64 v45, v38, v40, s[48:49]                  // 000000006C70: D100002D 00C25126
	v_perm_b32 v151, v45, v44, s52                             // 000000006C78: D1ED0097 00D2592D
	v_cmp_u_f32_e64 s[48:49], v160, v160                       // 000000006C80: D0480030 000341A0
	v_add3_u32 v38, v160, v41, 1                               // 000000006C88: D1FF0026 020653A0
	v_cndmask_b32_e64 v44, v38, v40, s[48:49]                  // 000000006C90: D100002C 00C25126
	v_cmp_u_f32_e64 s[48:49], v161, v161                       // 000000006C98: D0480030 000343A1
	v_add3_u32 v38, v161, v41, 1                               // 000000006CA0: D1FF0026 020653A1
	v_cndmask_b32_e64 v45, v38, v40, s[48:49]                  // 000000006CA8: D100002D 00C25126
	v_perm_b32 v152, v45, v44, s52                             // 000000006CB0: D1ED0098 00D2592D
	v_cmp_u_f32_e64 s[48:49], v162, v162                       // 000000006CB8: D0480030 000345A2
	v_add3_u32 v38, v162, v41, 1                               // 000000006CC0: D1FF0026 020653A2
	v_cndmask_b32_e64 v44, v38, v40, s[48:49]                  // 000000006CC8: D100002C 00C25126
	v_cmp_u_f32_e64 s[48:49], v163, v163                       // 000000006CD0: D0480030 000347A3
	v_add3_u32 v38, v163, v41, 1                               // 000000006CD8: D1FF0026 020653A3
	v_cndmask_b32_e64 v45, v38, v40, s[48:49]                  // 000000006CE0: D100002D 00C25126
	v_perm_b32 v153, v45, v44, s52                             // 000000006CE8: D1ED0099 00D2592D
	v_cmp_u_f32_e64 s[48:49], v164, v164                       // 000000006CF0: D0480030 000349A4
	v_add3_u32 v38, v164, v41, 1                               // 000000006CF8: D1FF0026 020653A4
	v_cndmask_b32_e64 v44, v38, v40, s[48:49]                  // 000000006D00: D100002C 00C25126
	v_cmp_u_f32_e64 s[48:49], v165, v165                       // 000000006D08: D0480030 00034BA5
	v_add3_u32 v38, v165, v41, 1                               // 000000006D10: D1FF0026 020653A5
	v_cndmask_b32_e64 v45, v38, v40, s[48:49]                  // 000000006D18: D100002D 00C25126
	v_perm_b32 v154, v45, v44, s52                             // 000000006D20: D1ED009A 00D2592D
	v_cmp_u_f32_e64 s[48:49], v166, v166                       // 000000006D28: D0480030 00034DA6
	v_add3_u32 v38, v166, v41, 1                               // 000000006D30: D1FF0026 020653A6
	v_cndmask_b32_e64 v44, v38, v40, s[48:49]                  // 000000006D38: D100002C 00C25126
	v_cmp_u_f32_e64 s[48:49], v167, v167                       // 000000006D40: D0480030 00034FA7
	v_add3_u32 v38, v167, v41, 1                               // 000000006D48: D1FF0026 020653A7
	v_cndmask_b32_e64 v45, v38, v40, s[48:49]                  // 000000006D50: D100002D 00C25126
	v_perm_b32 v155, v45, v44, s52                             // 000000006D58: D1ED009B 00D2592D
	v_cmp_u_f32_e64 s[48:49], v168, v168                       // 000000006D60: D0480030 000351A8
	v_add3_u32 v38, v168, v41, 1                               // 000000006D68: D1FF0026 020653A8
	v_cndmask_b32_e64 v44, v38, v40, s[48:49]                  // 000000006D70: D100002C 00C25126
	v_cmp_u_f32_e64 s[48:49], v169, v169                       // 000000006D78: D0480030 000353A9
	v_add3_u32 v38, v169, v41, 1                               // 000000006D80: D1FF0026 020653A9
	v_cndmask_b32_e64 v45, v38, v40, s[48:49]                  // 000000006D88: D100002D 00C25126
	v_perm_b32 v156, v45, v44, s52                             // 000000006D90: D1ED009C 00D2592D
	v_cmp_u_f32_e64 s[48:49], v170, v170                       // 000000006D98: D0480030 000355AA
	v_add3_u32 v38, v170, v41, 1                               // 000000006DA0: D1FF0026 020653AA
	v_cndmask_b32_e64 v44, v38, v40, s[48:49]                  // 000000006DA8: D100002C 00C25126
	v_cmp_u_f32_e64 s[48:49], v171, v171                       // 000000006DB0: D0480030 000357AB
	v_add3_u32 v38, v171, v41, 1                               // 000000006DB8: D1FF0026 020653AB
	v_cndmask_b32_e64 v45, v38, v40, s[48:49]                  // 000000006DC0: D100002D 00C25126
	v_perm_b32 v157, v45, v44, s52                             // 000000006DC8: D1ED009D 00D2592D
	v_cmp_u_f32_e64 s[48:49], v172, v172                       // 000000006DD0: D0480030 000359AC
	v_add3_u32 v38, v172, v41, 1                               // 000000006DD8: D1FF0026 020653AC
	v_cndmask_b32_e64 v44, v38, v40, s[48:49]                  // 000000006DE0: D100002C 00C25126
	v_cmp_u_f32_e64 s[48:49], v173, v173                       // 000000006DE8: D0480030 00035BAD
	v_add3_u32 v38, v173, v41, 1                               // 000000006DF0: D1FF0026 020653AD
	v_cndmask_b32_e64 v45, v38, v40, s[48:49]                  // 000000006DF8: D100002D 00C25126
	v_perm_b32 v158, v45, v44, s52                             // 000000006E00: D1ED009E 00D2592D
	v_cmp_u_f32_e64 s[48:49], v174, v174                       // 000000006E08: D0480030 00035DAE
	v_add3_u32 v38, v174, v41, 1                               // 000000006E10: D1FF0026 020653AE
	v_cndmask_b32_e64 v44, v38, v40, s[48:49]                  // 000000006E18: D100002C 00C25126
	v_cmp_u_f32_e64 s[48:49], v175, v175                       // 000000006E20: D0480030 00035FAF
	v_add3_u32 v38, v175, v41, 1                               // 000000006E28: D1FF0026 020653AF
	v_cndmask_b32_e64 v45, v38, v40, s[48:49]                  // 000000006E30: D100002D 00C25126
	v_perm_b32 v159, v45, v44, s52                             // 000000006E38: D1ED009F 00D2592D
	s_cmp_ge_u32 s80, 0x200                                    // 000000006E40: BF09FF50 00000200
	s_cselect_b32 s59, 0x200, s59                              // 000000006E48: 853B3BFF 00000200
	s_setvskip s20, 0                                          // 000000006E50: BF108014
	global_atomic_pk_add_bf16 v80, v64, s[8:9]                 // 000000006E54: DD488000 00084050
	s_setvskip 0, 0                                            // 000000006E5C: BF108080
	s_setvskip s20, 0                                          // 000000006E60: BF108014
	global_atomic_pk_add_bf16 v80, v65, s[8:9] offset:256      // 000000006E64: DD488100 00084150
	s_setvskip 0, 0                                            // 000000006E6C: BF108080
	s_setvskip s20, 1                                          // 000000006E70: BF108114
	global_atomic_pk_add_bf16 v82, v66, s[8:9]                 // 000000006E74: DD488000 00084252
	s_setvskip 0, 0                                            // 000000006E7C: BF108080
	s_setvskip s20, 1                                          // 000000006E80: BF108114
	global_atomic_pk_add_bf16 v82, v67, s[8:9] offset:256      // 000000006E84: DD488100 00084352
	s_setvskip 0, 0                                            // 000000006E8C: BF108080
	s_setvskip s20, 2                                          // 000000006E90: BF108214
	global_atomic_pk_add_bf16 v84, v68, s[8:9]                 // 000000006E94: DD488000 00084454
	s_setvskip 0, 0                                            // 000000006E9C: BF108080
	s_setvskip s20, 2                                          // 000000006EA0: BF108214
	global_atomic_pk_add_bf16 v84, v69, s[8:9] offset:256      // 000000006EA4: DD488100 00084554
	s_setvskip 0, 0                                            // 000000006EAC: BF108080
	s_setvskip s20, 3                                          // 000000006EB0: BF108314
	global_atomic_pk_add_bf16 v86, v70, s[8:9]                 // 000000006EB4: DD488000 00084656
	s_setvskip 0, 0                                            // 000000006EBC: BF108080
	s_setvskip s20, 3                                          // 000000006EC0: BF108314
	global_atomic_pk_add_bf16 v86, v71, s[8:9] offset:256      // 000000006EC4: DD488100 00084756
	s_setvskip 0, 0                                            // 000000006ECC: BF108080
	s_setvskip s20, 4                                          // 000000006ED0: BF108414
	global_atomic_pk_add_bf16 v88, v72, s[8:9]                 // 000000006ED4: DD488000 00084858
	s_setvskip 0, 0                                            // 000000006EDC: BF108080
	s_setvskip s20, 4                                          // 000000006EE0: BF108414
	global_atomic_pk_add_bf16 v88, v73, s[8:9] offset:256      // 000000006EE4: DD488100 00084958
	s_setvskip 0, 0                                            // 000000006EEC: BF108080
	s_setvskip s20, 5                                          // 000000006EF0: BF108514
	global_atomic_pk_add_bf16 v90, v74, s[8:9]                 // 000000006EF4: DD488000 00084A5A
	s_setvskip 0, 0                                            // 000000006EFC: BF108080
	s_setvskip s20, 5                                          // 000000006F00: BF108514
	global_atomic_pk_add_bf16 v90, v75, s[8:9] offset:256      // 000000006F04: DD488100 00084B5A
	s_setvskip 0, 0                                            // 000000006F0C: BF108080
	s_setvskip s20, 6                                          // 000000006F10: BF108614
	global_atomic_pk_add_bf16 v92, v76, s[8:9]                 // 000000006F14: DD488000 00084C5C
	s_setvskip 0, 0                                            // 000000006F1C: BF108080
	s_setvskip s20, 6                                          // 000000006F20: BF108614
	global_atomic_pk_add_bf16 v92, v77, s[8:9] offset:256      // 000000006F24: DD488100 00084D5C
	s_setvskip 0, 0                                            // 000000006F2C: BF108080
	s_setvskip s20, 7                                          // 000000006F30: BF108714
	global_atomic_pk_add_bf16 v94, v78, s[8:9]                 // 000000006F34: DD488000 00084E5E
	s_setvskip 0, 0                                            // 000000006F3C: BF108080
	s_setvskip s20, 7                                          // 000000006F40: BF108714
	global_atomic_pk_add_bf16 v94, v79, s[8:9] offset:256      // 000000006F44: DD488100 00084F5E
	s_setvskip 0, 0                                            // 000000006F4C: BF108080
	s_add_u32 s8, s59, s8                                      // 000000006F50: 8008083B
	s_addc_u32 s9, 0, s9                                       // 000000006F54: 82090980
	s_addk_i32 s80, 0x100                                      // 000000006F58: B7500100
	s_cmp_lt_i32 s80, s81                                      // 000000006F5C: BF045150
	s_cbranch_scc0 label_0A47                                  // 000000006F60: BF84F9EE
	s_waitcnt vmcnt(5) lgkmcnt(0)                              // 000000006F64: BF8C0075
	s_barrier                                                  // 000000006F68: BF8A0000
	v_mfma_f32_16x16x32_fp8_fp8 v[176:179], a[32:33], v[128:129], 0// 000000006F6C: D3F300B0 0A030120
	buffer_load_dwordx4 a[0:3], v34, s[12:15], 0 offen         // 000000006F74: E05C1000 80830022
	v_mfma_f32_16x16x32_fp8_fp8 v[176:179], a[34:35], v[130:131], v[176:179]// 000000006F7C: D3F300B0 0EC30522
	ds_read_b32 v64, v4 offset:36096                           // 000000006F84: D86C8D00 40000004
	ds_read_b32 v65, v4 offset:40448                           // 000000006F8C: D86C9E00 41000004
	v_mfma_f32_16x16x32_fp8_fp8 v[180:183], a[32:33], v[136:137], 0// 000000006F94: D3F300B4 0A031120
	v_mfma_f32_16x16x32_fp8_fp8 v[180:183], a[34:35], v[138:139], v[180:183]// 000000006F9C: D3F300B4 0ED31522
	ds_read_b32 v66, v4 offset:36128                           // 000000006FA4: D86C8D20 42000004
	ds_read_b32 v67, v4 offset:40480                           // 000000006FAC: D86C9E20 43000004
	v_mfma_f32_16x16x32_fp8_fp8 v[184:187], a[36:37], v[128:129], 0// 000000006FB4: D3F300B8 0A030124
	buffer_load_dwordx4 a[4:7], v35, s[12:15], 0 offen         // 000000006FBC: E05C1000 80830423
	v_mfma_f32_16x16x32_fp8_fp8 v[184:187], a[38:39], v[130:131], v[184:187]// 000000006FC4: D3F300B8 0EE30526
	ds_read_b32 v68, v4 offset:36160                           // 000000006FCC: D86C8D40 44000004
	ds_read_b32 v69, v4 offset:40512                           // 000000006FD4: D86C9E40 45000004
	v_mfma_f32_16x16x32_fp8_fp8 v[188:191], a[36:37], v[136:137], 0// 000000006FDC: D3F300BC 0A031124
	v_mfma_f32_16x16x32_fp8_fp8 v[188:191], a[38:39], v[138:139], v[188:191]// 000000006FE4: D3F300BC 0EF31526
	ds_read_b32 v70, v4 offset:36192                           // 000000006FEC: D86C8D60 46000004
	ds_read_b32 v71, v4 offset:40544                           // 000000006FF4: D86C9E60 47000004
	v_mfma_f32_16x16x32_fp8_fp8 v[192:195], a[40:41], v[128:129], 0// 000000006FFC: D3F300C0 0A030128
	buffer_load_dwordx4 a[8:11], v36, s[12:15], 0 offen        // 000000007004: E05C1000 80830824
	v_mfma_f32_16x16x32_fp8_fp8 v[192:195], a[42:43], v[130:131], v[192:195]// 00000000700C: D3F300C0 0F03052A
	ds_read_b32 v72, v4 offset:44800                           // 000000007014: D86CAF00 48000004
	ds_read_b32 v73, v4 offset:49152                           // 00000000701C: D86CC000 49000004
	v_mfma_f32_16x16x32_fp8_fp8 v[196:199], a[40:41], v[136:137], 0// 000000007024: D3F300C4 0A031128
	v_mfma_f32_16x16x32_fp8_fp8 v[196:199], a[42:43], v[138:139], v[196:199]// 00000000702C: D3F300C4 0F13152A
	ds_read_b32 v74, v4 offset:44832                           // 000000007034: D86CAF20 4A000004
	ds_read_b32 v75, v4 offset:49184                           // 00000000703C: D86CC020 4B000004
	v_mfma_f32_16x16x32_fp8_fp8 v[200:203], a[44:45], v[128:129], 0// 000000007044: D3F300C8 0A03012C
	buffer_load_dwordx4 a[12:15], v37, s[12:15], 0 offen       // 00000000704C: E05C1000 80830C25
	s_add_u32 s12, s78, s12                                    // 000000007054: 800C0C4E
	s_addc_u32 s13, 0, s13                                     // 000000007058: 820D0D80
	v_mfma_f32_16x16x32_fp8_fp8 v[200:203], a[46:47], v[130:131], v[200:203]// 00000000705C: D3F300C8 0F23052E
	ds_read_b32 v76, v4 offset:44864                           // 000000007064: D86CAF40 4C000004
	ds_read_b32 v77, v4 offset:49216                           // 00000000706C: D86CC040 4D000004
	v_mfma_f32_16x16x32_fp8_fp8 v[204:207], a[44:45], v[136:137], 0// 000000007074: D3F300CC 0A03112C
	v_mfma_f32_16x16x32_fp8_fp8 v[204:207], a[46:47], v[138:139], v[204:207]// 00000000707C: D3F300CC 0F33152E
	ds_read_b32 v78, v4 offset:44896                           // 000000007084: D86CAF60 4E000004
	ds_read_b32 v79, v4 offset:49248                           // 00000000708C: D86CC060 4F000004
	s_waitcnt vmcnt(4)                                         // 000000007094: BF8C0F74
	v_mfma_f32_16x16x32_fp8_fp8 v[176:179], a[48:49], v[132:133], v[176:179]// 000000007098: D3F300B0 0EC30930
	buffer_load_dwordx4 a[16:19], v34, s[12:15], 0 offen       // 0000000070A0: E05C1000 80831022
	v_mfma_f32_16x16x32_fp8_fp8 v[176:179], a[50:51], v[134:135], v[176:179]// 0000000070A8: D3F300B0 0EC30D32
	v_mfma_f32_16x16x32_fp8_fp8 v[180:183], a[48:49], v[140:141], v[180:183]// 0000000070B0: D3F300B4 0ED31930
	buffer_load_dword v11, v5, s[16:19], 0 offen               // 0000000070B8: E0501000 80040B05
	v_mfma_f32_16x16x32_fp8_fp8 v[180:183], a[50:51], v[142:143], v[180:183]// 0000000070C0: D3F300B4 0ED31D32
	v_mfma_f32_16x16x32_fp8_fp8 v[184:187], a[52:53], v[132:133], v[184:187]// 0000000070C8: D3F300B8 0EE30934
	buffer_load_dwordx4 a[20:23], v35, s[12:15], 0 offen       // 0000000070D0: E05C1000 80831423
	v_mfma_f32_16x16x32_fp8_fp8 v[184:187], a[54:55], v[134:135], v[184:187]// 0000000070D8: D3F300B8 0EE30D36
	v_mfma_f32_16x16x32_fp8_fp8 v[188:191], a[52:53], v[140:141], v[188:191]// 0000000070E0: D3F300BC 0EF31934
	v_mfma_f32_16x16x32_fp8_fp8 v[188:191], a[54:55], v[142:143], v[188:191]// 0000000070E8: D3F300BC 0EF31D36
	v_mfma_f32_16x16x32_fp8_fp8 v[192:195], a[56:57], v[132:133], v[192:195]// 0000000070F0: D3F300C0 0F030938
	buffer_load_dwordx4 a[24:27], v36, s[12:15], 0 offen       // 0000000070F8: E05C1000 80831824
	v_mfma_f32_16x16x32_fp8_fp8 v[192:195], a[58:59], v[134:135], v[192:195]// 000000007100: D3F300C0 0F030D3A
	v_mfma_f32_16x16x32_fp8_fp8 v[196:199], a[56:57], v[140:141], v[196:199]// 000000007108: D3F300C4 0F131938
	v_mfma_f32_16x16x32_fp8_fp8 v[196:199], a[58:59], v[142:143], v[196:199]// 000000007110: D3F300C4 0F131D3A
	v_mfma_f32_16x16x32_fp8_fp8 v[200:203], a[60:61], v[132:133], v[200:203]// 000000007118: D3F300C8 0F23093C
	buffer_load_dwordx4 a[28:31], v37, s[12:15], 0 offen       // 000000007120: E05C1000 80831C25
	v_mfma_f32_16x16x32_fp8_fp8 v[200:203], a[62:63], v[134:135], v[200:203]// 000000007128: D3F300C8 0F230D3E
	v_mfma_f32_16x16x32_fp8_fp8 v[204:207], a[60:61], v[140:141], v[204:207]// 000000007130: D3F300CC 0F33193C
	v_mfma_f32_16x16x32_fp8_fp8 v[204:207], a[62:63], v[142:143], v[204:207]// 000000007138: D3F300CC 0F331D3E
	s_add_u32 s60, 0x200, s80                                  // 000000007140: 803C50FF 00000200
	s_cmp_lt_u32 s60, s81                                      // 000000007148: BF0A513C
	s_cselect_b32 s56, s56, 0                                  // 00000000714C: 85388038
	s_cselect_b32 s78, s78, 0                                  // 000000007150: 854E804E
	s_cselect_b32 s79, s79, 0                                  // 000000007154: 854F804F
	s_add_u32 s12, s56, s12                                    // 000000007158: 800C0C38
	s_addc_u32 s13, 0, s13                                     // 00000000715C: 820D0D80
	s_add_u32 s16, s79, s16                                    // 000000007160: 8010104F
	s_addc_u32 s17, 0, s17                                     // 000000007164: 82111180
	v_mul_f32_e32 v176, v22, v176                              // 000000007168: 0B616116
	v_mul_f32_e32 v177, v22, v177                              // 00000000716C: 0B636316
	v_mul_f32_e32 v178, v22, v178                              // 000000007170: 0B656516
	v_mul_f32_e32 v179, v22, v179                              // 000000007174: 0B676716
	v_mul_f32_dpp v176, v12, v176 row_newbcast:0 row_mask:0xf bank_mask:0xf// 000000007178: 0B6160FA FF01500C
	v_mul_f32_dpp v177, v12, v177 row_newbcast:1 row_mask:0xf bank_mask:0xf// 000000007180: 0B6362FA FF01510C
	v_mul_f32_dpp v178, v12, v178 row_newbcast:2 row_mask:0xf bank_mask:0xf// 000000007188: 0B6564FA FF01520C
	v_mul_f32_dpp v179, v12, v179 row_newbcast:3 row_mask:0xf bank_mask:0xf// 000000007190: 0B6766FA FF01530C
	v_mul_f32_e32 v176, v17, v176                              // 000000007198: 0B616111
	v_mul_f32_e32 v177, v17, v177                              // 00000000719C: 0B636311
	v_mul_f32_e32 v178, v17, v178                              // 0000000071A0: 0B656511
	v_mul_f32_e32 v179, v17, v179                              // 0000000071A4: 0B676711
	v_mul_f32_e32 v180, v23, v180                              // 0000000071A8: 0B696917
	v_mul_f32_e32 v181, v23, v181                              // 0000000071AC: 0B6B6B17
	v_mul_f32_e32 v182, v23, v182                              // 0000000071B0: 0B6D6D17
	v_mul_f32_e32 v183, v23, v183                              // 0000000071B4: 0B6F6F17
	v_mul_f32_dpp v180, v12, v180 row_newbcast:0 row_mask:0xf bank_mask:0xf// 0000000071B8: 0B6968FA FF01500C
	v_mul_f32_dpp v181, v12, v181 row_newbcast:1 row_mask:0xf bank_mask:0xf// 0000000071C0: 0B6B6AFA FF01510C
	v_mul_f32_dpp v182, v12, v182 row_newbcast:2 row_mask:0xf bank_mask:0xf// 0000000071C8: 0B6D6CFA FF01520C
	v_mul_f32_dpp v183, v12, v183 row_newbcast:3 row_mask:0xf bank_mask:0xf// 0000000071D0: 0B6F6EFA FF01530C
	v_mul_f32_e32 v180, v18, v180                              // 0000000071D8: 0B696912
	v_mul_f32_e32 v181, v18, v181                              // 0000000071DC: 0B6B6B12
	v_mul_f32_e32 v182, v18, v182                              // 0000000071E0: 0B6D6D12
	v_mul_f32_e32 v183, v18, v183                              // 0000000071E4: 0B6F6F12
	v_mul_f32_e32 v184, v22, v184                              // 0000000071E8: 0B717116
	v_mul_f32_e32 v185, v22, v185                              // 0000000071EC: 0B737316
	v_mul_f32_e32 v186, v22, v186                              // 0000000071F0: 0B757516
	v_mul_f32_e32 v187, v22, v187                              // 0000000071F4: 0B777716
	v_mul_f32_dpp v184, v12, v184 row_newbcast:4 row_mask:0xf bank_mask:0xf// 0000000071F8: 0B7170FA FF01540C
	v_mul_f32_dpp v185, v12, v185 row_newbcast:5 row_mask:0xf bank_mask:0xf// 000000007200: 0B7372FA FF01550C
	v_mul_f32_dpp v186, v12, v186 row_newbcast:6 row_mask:0xf bank_mask:0xf// 000000007208: 0B7574FA FF01560C
	v_mul_f32_dpp v187, v12, v187 row_newbcast:7 row_mask:0xf bank_mask:0xf// 000000007210: 0B7776FA FF01570C
	v_mul_f32_e32 v184, v17, v184                              // 000000007218: 0B717111
	v_mul_f32_e32 v185, v17, v185                              // 00000000721C: 0B737311
	v_mul_f32_e32 v186, v17, v186                              // 000000007220: 0B757511
	v_mul_f32_e32 v187, v17, v187                              // 000000007224: 0B777711
	v_mul_f32_e32 v188, v23, v188                              // 000000007228: 0B797917
	v_mul_f32_e32 v189, v23, v189                              // 00000000722C: 0B7B7B17
	v_mul_f32_e32 v190, v23, v190                              // 000000007230: 0B7D7D17
	v_mul_f32_e32 v191, v23, v191                              // 000000007234: 0B7F7F17
	v_mul_f32_dpp v188, v12, v188 row_newbcast:4 row_mask:0xf bank_mask:0xf// 000000007238: 0B7978FA FF01540C
	v_mul_f32_dpp v189, v12, v189 row_newbcast:5 row_mask:0xf bank_mask:0xf// 000000007240: 0B7B7AFA FF01550C
	v_mul_f32_dpp v190, v12, v190 row_newbcast:6 row_mask:0xf bank_mask:0xf// 000000007248: 0B7D7CFA FF01560C
	v_mul_f32_dpp v191, v12, v191 row_newbcast:7 row_mask:0xf bank_mask:0xf// 000000007250: 0B7F7EFA FF01570C
	v_mul_f32_e32 v188, v18, v188                              // 000000007258: 0B797912
	v_mul_f32_e32 v189, v18, v189                              // 00000000725C: 0B7B7B12
	v_mul_f32_e32 v190, v18, v190                              // 000000007260: 0B7D7D12
	v_mul_f32_e32 v191, v18, v191                              // 000000007264: 0B7F7F12
	v_mul_f32_e32 v192, v22, v192                              // 000000007268: 0B818116
	v_mul_f32_e32 v193, v22, v193                              // 00000000726C: 0B838316
	v_mul_f32_e32 v194, v22, v194                              // 000000007270: 0B858516
	v_mul_f32_e32 v195, v22, v195                              // 000000007274: 0B878716
	v_mul_f32_dpp v192, v12, v192 row_newbcast:8 row_mask:0xf bank_mask:0xf// 000000007278: 0B8180FA FF01580C
	v_mul_f32_dpp v193, v12, v193 row_newbcast:9 row_mask:0xf bank_mask:0xf// 000000007280: 0B8382FA FF01590C
	v_mul_f32_dpp v194, v12, v194 row_newbcast:10 row_mask:0xf bank_mask:0xf// 000000007288: 0B8584FA FF015A0C
	v_mul_f32_dpp v195, v12, v195 row_newbcast:11 row_mask:0xf bank_mask:0xf// 000000007290: 0B8786FA FF015B0C
	v_mul_f32_e32 v192, v17, v192                              // 000000007298: 0B818111
	v_mul_f32_e32 v193, v17, v193                              // 00000000729C: 0B838311
	v_mul_f32_e32 v194, v17, v194                              // 0000000072A0: 0B858511
	v_mul_f32_e32 v195, v17, v195                              // 0000000072A4: 0B878711
	v_mul_f32_e32 v196, v23, v196                              // 0000000072A8: 0B898917
	v_mul_f32_e32 v197, v23, v197                              // 0000000072AC: 0B8B8B17
	v_mul_f32_e32 v198, v23, v198                              // 0000000072B0: 0B8D8D17
	v_mul_f32_e32 v199, v23, v199                              // 0000000072B4: 0B8F8F17
	v_mul_f32_dpp v196, v12, v196 row_newbcast:8 row_mask:0xf bank_mask:0xf// 0000000072B8: 0B8988FA FF01580C
	v_mul_f32_dpp v197, v12, v197 row_newbcast:9 row_mask:0xf bank_mask:0xf// 0000000072C0: 0B8B8AFA FF01590C
	v_mul_f32_dpp v198, v12, v198 row_newbcast:10 row_mask:0xf bank_mask:0xf// 0000000072C8: 0B8D8CFA FF015A0C
	v_mul_f32_dpp v199, v12, v199 row_newbcast:11 row_mask:0xf bank_mask:0xf// 0000000072D0: 0B8F8EFA FF015B0C
	v_mul_f32_e32 v196, v18, v196                              // 0000000072D8: 0B898912
	v_mul_f32_e32 v197, v18, v197                              // 0000000072DC: 0B8B8B12
	v_mul_f32_e32 v198, v18, v198                              // 0000000072E0: 0B8D8D12
	v_mul_f32_e32 v199, v18, v199                              // 0000000072E4: 0B8F8F12
	v_mul_f32_e32 v200, v22, v200                              // 0000000072E8: 0B919116
	v_mul_f32_e32 v201, v22, v201                              // 0000000072EC: 0B939316
	v_mul_f32_e32 v202, v22, v202                              // 0000000072F0: 0B959516
	v_mul_f32_e32 v203, v22, v203                              // 0000000072F4: 0B979716
	v_mul_f32_dpp v200, v12, v200 row_newbcast:12 row_mask:0xf bank_mask:0xf// 0000000072F8: 0B9190FA FF015C0C
	v_mul_f32_dpp v201, v12, v201 row_newbcast:13 row_mask:0xf bank_mask:0xf// 000000007300: 0B9392FA FF015D0C
	v_mul_f32_dpp v202, v12, v202 row_newbcast:14 row_mask:0xf bank_mask:0xf// 000000007308: 0B9594FA FF015E0C
	v_mul_f32_dpp v203, v12, v203 row_newbcast:15 row_mask:0xf bank_mask:0xf// 000000007310: 0B9796FA FF015F0C
	v_mul_f32_e32 v200, v17, v200                              // 000000007318: 0B919111
	v_mul_f32_e32 v201, v17, v201                              // 00000000731C: 0B939311
	v_mul_f32_e32 v202, v17, v202                              // 000000007320: 0B959511
	v_mul_f32_e32 v203, v17, v203                              // 000000007324: 0B979711
	v_mul_f32_e32 v204, v23, v204                              // 000000007328: 0B999917
	v_mul_f32_e32 v205, v23, v205                              // 00000000732C: 0B9B9B17
	v_mul_f32_e32 v206, v23, v206                              // 000000007330: 0B9D9D17
	v_mul_f32_e32 v207, v23, v207                              // 000000007334: 0B9F9F17
	v_mul_f32_dpp v204, v12, v204 row_newbcast:12 row_mask:0xf bank_mask:0xf// 000000007338: 0B9998FA FF015C0C
	v_mul_f32_dpp v205, v12, v205 row_newbcast:13 row_mask:0xf bank_mask:0xf// 000000007340: 0B9B9AFA FF015D0C
	v_mul_f32_dpp v206, v12, v206 row_newbcast:14 row_mask:0xf bank_mask:0xf// 000000007348: 0B9D9CFA FF015E0C
	v_mul_f32_dpp v207, v12, v207 row_newbcast:15 row_mask:0xf bank_mask:0xf// 000000007350: 0B9F9EFA FF015F0C
	v_mul_f32_e32 v204, v18, v204                              // 000000007358: 0B999912
	v_mul_f32_e32 v205, v18, v205                              // 00000000735C: 0B9B9B12
	v_mul_f32_e32 v206, v18, v206                              // 000000007360: 0B9D9D12
	v_mul_f32_e32 v207, v18, v207                              // 000000007364: 0B9F9F12
	v_cmp_u_f32_e64 s[48:49], v176, v176                       // 000000007368: D0480030 000361B0
	v_add3_u32 v38, v176, v41, 1                               // 000000007370: D1FF0026 020653B0
	v_cndmask_b32_e64 v44, v38, v40, s[48:49]                  // 000000007378: D100002C 00C25126
	v_cmp_u_f32_e64 s[48:49], v177, v177                       // 000000007380: D0480030 000363B1
	v_add3_u32 v38, v177, v41, 1                               // 000000007388: D1FF0026 020653B1
	v_cndmask_b32_e64 v45, v38, v40, s[48:49]                  // 000000007390: D100002D 00C25126
	v_perm_b32 v176, v45, v44, s52                             // 000000007398: D1ED00B0 00D2592D
	v_cmp_u_f32_e64 s[48:49], v178, v178                       // 0000000073A0: D0480030 000365B2
	v_add3_u32 v38, v178, v41, 1                               // 0000000073A8: D1FF0026 020653B2
	v_cndmask_b32_e64 v44, v38, v40, s[48:49]                  // 0000000073B0: D100002C 00C25126
	v_cmp_u_f32_e64 s[48:49], v179, v179                       // 0000000073B8: D0480030 000367B3
	v_add3_u32 v38, v179, v41, 1                               // 0000000073C0: D1FF0026 020653B3
	v_cndmask_b32_e64 v45, v38, v40, s[48:49]                  // 0000000073C8: D100002D 00C25126
	v_perm_b32 v177, v45, v44, s52                             // 0000000073D0: D1ED00B1 00D2592D
	v_cmp_u_f32_e64 s[48:49], v180, v180                       // 0000000073D8: D0480030 000369B4
	v_add3_u32 v38, v180, v41, 1                               // 0000000073E0: D1FF0026 020653B4
	v_cndmask_b32_e64 v44, v38, v40, s[48:49]                  // 0000000073E8: D100002C 00C25126
	v_cmp_u_f32_e64 s[48:49], v181, v181                       // 0000000073F0: D0480030 00036BB5
	v_add3_u32 v38, v181, v41, 1                               // 0000000073F8: D1FF0026 020653B5
	v_cndmask_b32_e64 v45, v38, v40, s[48:49]                  // 000000007400: D100002D 00C25126
	v_perm_b32 v178, v45, v44, s52                             // 000000007408: D1ED00B2 00D2592D
	v_cmp_u_f32_e64 s[48:49], v182, v182                       // 000000007410: D0480030 00036DB6
	v_add3_u32 v38, v182, v41, 1                               // 000000007418: D1FF0026 020653B6
	v_cndmask_b32_e64 v44, v38, v40, s[48:49]                  // 000000007420: D100002C 00C25126
	v_cmp_u_f32_e64 s[48:49], v183, v183                       // 000000007428: D0480030 00036FB7
	v_add3_u32 v38, v183, v41, 1                               // 000000007430: D1FF0026 020653B7
	v_cndmask_b32_e64 v45, v38, v40, s[48:49]                  // 000000007438: D100002D 00C25126
	v_perm_b32 v179, v45, v44, s52                             // 000000007440: D1ED00B3 00D2592D
	v_cmp_u_f32_e64 s[48:49], v184, v184                       // 000000007448: D0480030 000371B8
	v_add3_u32 v38, v184, v41, 1                               // 000000007450: D1FF0026 020653B8
	v_cndmask_b32_e64 v44, v38, v40, s[48:49]                  // 000000007458: D100002C 00C25126
	v_cmp_u_f32_e64 s[48:49], v185, v185                       // 000000007460: D0480030 000373B9
	v_add3_u32 v38, v185, v41, 1                               // 000000007468: D1FF0026 020653B9
	v_cndmask_b32_e64 v45, v38, v40, s[48:49]                  // 000000007470: D100002D 00C25126
	v_perm_b32 v180, v45, v44, s52                             // 000000007478: D1ED00B4 00D2592D
	v_cmp_u_f32_e64 s[48:49], v186, v186                       // 000000007480: D0480030 000375BA
	v_add3_u32 v38, v186, v41, 1                               // 000000007488: D1FF0026 020653BA
	v_cndmask_b32_e64 v44, v38, v40, s[48:49]                  // 000000007490: D100002C 00C25126
	v_cmp_u_f32_e64 s[48:49], v187, v187                       // 000000007498: D0480030 000377BB
	v_add3_u32 v38, v187, v41, 1                               // 0000000074A0: D1FF0026 020653BB
	v_cndmask_b32_e64 v45, v38, v40, s[48:49]                  // 0000000074A8: D100002D 00C25126
	v_perm_b32 v181, v45, v44, s52                             // 0000000074B0: D1ED00B5 00D2592D
	v_cmp_u_f32_e64 s[48:49], v188, v188                       // 0000000074B8: D0480030 000379BC
	v_add3_u32 v38, v188, v41, 1                               // 0000000074C0: D1FF0026 020653BC
	v_cndmask_b32_e64 v44, v38, v40, s[48:49]                  // 0000000074C8: D100002C 00C25126
	v_cmp_u_f32_e64 s[48:49], v189, v189                       // 0000000074D0: D0480030 00037BBD
	v_add3_u32 v38, v189, v41, 1                               // 0000000074D8: D1FF0026 020653BD
	v_cndmask_b32_e64 v45, v38, v40, s[48:49]                  // 0000000074E0: D100002D 00C25126
	v_perm_b32 v182, v45, v44, s52                             // 0000000074E8: D1ED00B6 00D2592D
	v_cmp_u_f32_e64 s[48:49], v190, v190                       // 0000000074F0: D0480030 00037DBE
	v_add3_u32 v38, v190, v41, 1                               // 0000000074F8: D1FF0026 020653BE
	v_cndmask_b32_e64 v44, v38, v40, s[48:49]                  // 000000007500: D100002C 00C25126
	v_cmp_u_f32_e64 s[48:49], v191, v191                       // 000000007508: D0480030 00037FBF
	v_add3_u32 v38, v191, v41, 1                               // 000000007510: D1FF0026 020653BF
	v_cndmask_b32_e64 v45, v38, v40, s[48:49]                  // 000000007518: D100002D 00C25126
	v_perm_b32 v183, v45, v44, s52                             // 000000007520: D1ED00B7 00D2592D
	v_cmp_u_f32_e64 s[48:49], v192, v192                       // 000000007528: D0480030 000381C0
	v_add3_u32 v38, v192, v41, 1                               // 000000007530: D1FF0026 020653C0
	v_cndmask_b32_e64 v44, v38, v40, s[48:49]                  // 000000007538: D100002C 00C25126
	v_cmp_u_f32_e64 s[48:49], v193, v193                       // 000000007540: D0480030 000383C1
	v_add3_u32 v38, v193, v41, 1                               // 000000007548: D1FF0026 020653C1
	v_cndmask_b32_e64 v45, v38, v40, s[48:49]                  // 000000007550: D100002D 00C25126
	v_perm_b32 v184, v45, v44, s52                             // 000000007558: D1ED00B8 00D2592D
	v_cmp_u_f32_e64 s[48:49], v194, v194                       // 000000007560: D0480030 000385C2
	v_add3_u32 v38, v194, v41, 1                               // 000000007568: D1FF0026 020653C2
	v_cndmask_b32_e64 v44, v38, v40, s[48:49]                  // 000000007570: D100002C 00C25126
	v_cmp_u_f32_e64 s[48:49], v195, v195                       // 000000007578: D0480030 000387C3
	v_add3_u32 v38, v195, v41, 1                               // 000000007580: D1FF0026 020653C3
	v_cndmask_b32_e64 v45, v38, v40, s[48:49]                  // 000000007588: D100002D 00C25126
	v_perm_b32 v185, v45, v44, s52                             // 000000007590: D1ED00B9 00D2592D
	v_cmp_u_f32_e64 s[48:49], v196, v196                       // 000000007598: D0480030 000389C4
	v_add3_u32 v38, v196, v41, 1                               // 0000000075A0: D1FF0026 020653C4
	v_cndmask_b32_e64 v44, v38, v40, s[48:49]                  // 0000000075A8: D100002C 00C25126
	v_cmp_u_f32_e64 s[48:49], v197, v197                       // 0000000075B0: D0480030 00038BC5
	v_add3_u32 v38, v197, v41, 1                               // 0000000075B8: D1FF0026 020653C5
	v_cndmask_b32_e64 v45, v38, v40, s[48:49]                  // 0000000075C0: D100002D 00C25126
	v_perm_b32 v186, v45, v44, s52                             // 0000000075C8: D1ED00BA 00D2592D
	v_cmp_u_f32_e64 s[48:49], v198, v198                       // 0000000075D0: D0480030 00038DC6
	v_add3_u32 v38, v198, v41, 1                               // 0000000075D8: D1FF0026 020653C6
	v_cndmask_b32_e64 v44, v38, v40, s[48:49]                  // 0000000075E0: D100002C 00C25126
	v_cmp_u_f32_e64 s[48:49], v199, v199                       // 0000000075E8: D0480030 00038FC7
	v_add3_u32 v38, v199, v41, 1                               // 0000000075F0: D1FF0026 020653C7
	v_cndmask_b32_e64 v45, v38, v40, s[48:49]                  // 0000000075F8: D100002D 00C25126
	v_perm_b32 v187, v45, v44, s52                             // 000000007600: D1ED00BB 00D2592D
	v_cmp_u_f32_e64 s[48:49], v200, v200                       // 000000007608: D0480030 000391C8
	v_add3_u32 v38, v200, v41, 1                               // 000000007610: D1FF0026 020653C8
	v_cndmask_b32_e64 v44, v38, v40, s[48:49]                  // 000000007618: D100002C 00C25126
	v_cmp_u_f32_e64 s[48:49], v201, v201                       // 000000007620: D0480030 000393C9
	v_add3_u32 v38, v201, v41, 1                               // 000000007628: D1FF0026 020653C9
	v_cndmask_b32_e64 v45, v38, v40, s[48:49]                  // 000000007630: D100002D 00C25126
	v_perm_b32 v188, v45, v44, s52                             // 000000007638: D1ED00BC 00D2592D
	v_cmp_u_f32_e64 s[48:49], v202, v202                       // 000000007640: D0480030 000395CA
	v_add3_u32 v38, v202, v41, 1                               // 000000007648: D1FF0026 020653CA
	v_cndmask_b32_e64 v44, v38, v40, s[48:49]                  // 000000007650: D100002C 00C25126
	v_cmp_u_f32_e64 s[48:49], v203, v203                       // 000000007658: D0480030 000397CB
	v_add3_u32 v38, v203, v41, 1                               // 000000007660: D1FF0026 020653CB
	v_cndmask_b32_e64 v45, v38, v40, s[48:49]                  // 000000007668: D100002D 00C25126
	v_perm_b32 v189, v45, v44, s52                             // 000000007670: D1ED00BD 00D2592D
	v_cmp_u_f32_e64 s[48:49], v204, v204                       // 000000007678: D0480030 000399CC
	v_add3_u32 v38, v204, v41, 1                               // 000000007680: D1FF0026 020653CC
	v_cndmask_b32_e64 v44, v38, v40, s[48:49]                  // 000000007688: D100002C 00C25126
	v_cmp_u_f32_e64 s[48:49], v205, v205                       // 000000007690: D0480030 00039BCD
	v_add3_u32 v38, v205, v41, 1                               // 000000007698: D1FF0026 020653CD
	v_cndmask_b32_e64 v45, v38, v40, s[48:49]                  // 0000000076A0: D100002D 00C25126
	v_perm_b32 v190, v45, v44, s52                             // 0000000076A8: D1ED00BE 00D2592D
	v_cmp_u_f32_e64 s[48:49], v206, v206                       // 0000000076B0: D0480030 00039DCE
	v_add3_u32 v38, v206, v41, 1                               // 0000000076B8: D1FF0026 020653CE
	v_cndmask_b32_e64 v44, v38, v40, s[48:49]                  // 0000000076C0: D100002C 00C25126
	v_cmp_u_f32_e64 s[48:49], v207, v207                       // 0000000076C8: D0480030 00039FCF
	v_add3_u32 v38, v207, v41, 1                               // 0000000076D0: D1FF0026 020653CF
	v_cndmask_b32_e64 v45, v38, v40, s[48:49]                  // 0000000076D8: D100002D 00C25126
	v_perm_b32 v191, v45, v44, s52                             // 0000000076E0: D1ED00BF 00D2592D
	s_cmp_ge_u32 s80, 0x200                                    // 0000000076E8: BF09FF50 00000200
	s_cselect_b32 s59, 0x200, s59                              // 0000000076F0: 853B3BFF 00000200
	s_setvskip s20, 0                                          // 0000000076F8: BF108014
	global_atomic_pk_add_bf16 v80, v64, s[8:9]                 // 0000000076FC: DD488000 00084050
	s_setvskip 0, 0                                            // 000000007704: BF108080
	s_setvskip s20, 0                                          // 000000007708: BF108014
	global_atomic_pk_add_bf16 v80, v65, s[8:9] offset:256      // 00000000770C: DD488100 00084150
	s_setvskip 0, 0                                            // 000000007714: BF108080
	s_setvskip s20, 1                                          // 000000007718: BF108114
	global_atomic_pk_add_bf16 v82, v66, s[8:9]                 // 00000000771C: DD488000 00084252
	s_setvskip 0, 0                                            // 000000007724: BF108080
	s_setvskip s20, 1                                          // 000000007728: BF108114
	global_atomic_pk_add_bf16 v82, v67, s[8:9] offset:256      // 00000000772C: DD488100 00084352
	s_setvskip 0, 0                                            // 000000007734: BF108080
	s_setvskip s20, 2                                          // 000000007738: BF108214
	global_atomic_pk_add_bf16 v84, v68, s[8:9]                 // 00000000773C: DD488000 00084454
	s_setvskip 0, 0                                            // 000000007744: BF108080
	s_setvskip s20, 2                                          // 000000007748: BF108214
	global_atomic_pk_add_bf16 v84, v69, s[8:9] offset:256      // 00000000774C: DD488100 00084554
	s_setvskip 0, 0                                            // 000000007754: BF108080
	s_setvskip s20, 3                                          // 000000007758: BF108314
	global_atomic_pk_add_bf16 v86, v70, s[8:9]                 // 00000000775C: DD488000 00084656
	s_setvskip 0, 0                                            // 000000007764: BF108080
	s_setvskip s20, 3                                          // 000000007768: BF108314
	global_atomic_pk_add_bf16 v86, v71, s[8:9] offset:256      // 00000000776C: DD488100 00084756
	s_setvskip 0, 0                                            // 000000007774: BF108080
	s_setvskip s20, 4                                          // 000000007778: BF108414
	global_atomic_pk_add_bf16 v88, v72, s[8:9]                 // 00000000777C: DD488000 00084858
	s_setvskip 0, 0                                            // 000000007784: BF108080
	s_setvskip s20, 4                                          // 000000007788: BF108414
	global_atomic_pk_add_bf16 v88, v73, s[8:9] offset:256      // 00000000778C: DD488100 00084958
	s_setvskip 0, 0                                            // 000000007794: BF108080
	s_setvskip s20, 5                                          // 000000007798: BF108514
	global_atomic_pk_add_bf16 v90, v74, s[8:9]                 // 00000000779C: DD488000 00084A5A
	s_setvskip 0, 0                                            // 0000000077A4: BF108080
	s_setvskip s20, 5                                          // 0000000077A8: BF108514
	global_atomic_pk_add_bf16 v90, v75, s[8:9] offset:256      // 0000000077AC: DD488100 00084B5A
	s_setvskip 0, 0                                            // 0000000077B4: BF108080
	s_setvskip s20, 6                                          // 0000000077B8: BF108614
	global_atomic_pk_add_bf16 v92, v76, s[8:9]                 // 0000000077BC: DD488000 00084C5C
	s_setvskip 0, 0                                            // 0000000077C4: BF108080
	s_setvskip s20, 6                                          // 0000000077C8: BF108614
	global_atomic_pk_add_bf16 v92, v77, s[8:9] offset:256      // 0000000077CC: DD488100 00084D5C
	s_setvskip 0, 0                                            // 0000000077D4: BF108080
	s_setvskip s20, 7                                          // 0000000077D8: BF108714
	global_atomic_pk_add_bf16 v94, v78, s[8:9]                 // 0000000077DC: DD488000 00084E5E
	s_setvskip 0, 0                                            // 0000000077E4: BF108080
	s_setvskip s20, 7                                          // 0000000077E8: BF108714
	global_atomic_pk_add_bf16 v94, v79, s[8:9] offset:256      // 0000000077EC: DD488100 00084F5E
	s_setvskip 0, 0                                            // 0000000077F4: BF108080
	s_add_u32 s8, s59, s8                                      // 0000000077F8: 8008083B
	s_addc_u32 s9, 0, s9                                       // 0000000077FC: 82090980
	s_addk_i32 s80, 0x100                                      // 000000007800: B7500100
	s_cmp_lt_i32 s80, s81                                      // 000000007804: BF045150
	s_cbranch_scc0 label_0A47                                  // 000000007808: BF84F7C4
	s_branch label_0E2F                                        // 00000000780C: BF82FBAB

0000000000007810 <label_1284>:
	s_cmp_ge_u32 s59, 0                                        // 000000007810: BF09803B
	s_cselect_b32 s59, 0x200, s59                              // 000000007814: 853B3BFF 00000200
	s_waitcnt lgkmcnt(0)                                       // 00000000781C: BF8CC07F
	s_barrier                                                  // 000000007820: BF8A0000
	s_cmp_eq_u32 s64, 0x100                                    // 000000007824: BF06FF40 00000100
	s_cbranch_scc0 label_1300                                  // 00000000782C: BF840074
	ds_write_b64 v3, v[144:145] offset:18688                   // 000000007830: D89A4900 00009003
	ds_write_b64 v3, v[146:147] offset:27392                   // 000000007838: D89A6B00 00009203
	ds_write_b64 v3, v[148:149] offset:20864                   // 000000007840: D89A5180 00009403
	ds_write_b64 v3, v[150:151] offset:29568                   // 000000007848: D89A7380 00009603
	ds_write_b64 v3, v[152:153] offset:23040                   // 000000007850: D89A5A00 00009803
	ds_write_b64 v3, v[154:155] offset:31744                   // 000000007858: D89A7C00 00009A03
	ds_write_b64 v3, v[156:157] offset:25216                   // 000000007860: D89A6280 00009C03
	ds_write_b64 v3, v[158:159] offset:33920                   // 000000007868: D89A8480 00009E03
	s_waitcnt lgkmcnt(0)                                       // 000000007870: BF8CC07F
	s_barrier                                                  // 000000007874: BF8A0000
	ds_read_b32 v64, v4 offset:18688                           // 000000007878: D86C4900 40000004
	ds_read_b32 v65, v4 offset:23040                           // 000000007880: D86C5A00 41000004
	ds_read_b32 v66, v4 offset:18720                           // 000000007888: D86C4920 42000004
	ds_read_b32 v67, v4 offset:23072                           // 000000007890: D86C5A20 43000004
	ds_read_b32 v68, v4 offset:18752                           // 000000007898: D86C4940 44000004
	ds_read_b32 v69, v4 offset:23104                           // 0000000078A0: D86C5A40 45000004
	ds_read_b32 v70, v4 offset:18784                           // 0000000078A8: D86C4960 46000004
	ds_read_b32 v71, v4 offset:23136                           // 0000000078B0: D86C5A60 47000004
	ds_read_b32 v72, v4 offset:27392                           // 0000000078B8: D86C6B00 48000004
	ds_read_b32 v73, v4 offset:31744                           // 0000000078C0: D86C7C00 49000004
	ds_read_b32 v74, v4 offset:27424                           // 0000000078C8: D86C6B20 4A000004
	ds_read_b32 v75, v4 offset:31776                           // 0000000078D0: D86C7C20 4B000004
	ds_read_b32 v76, v4 offset:27456                           // 0000000078D8: D86C6B40 4C000004
	ds_read_b32 v77, v4 offset:31808                           // 0000000078E0: D86C7C40 4D000004
	ds_read_b32 v78, v4 offset:27488                           // 0000000078E8: D86C6B60 4E000004
	ds_read_b32 v79, v4 offset:31840                           // 0000000078F0: D86C7C60 4F000004
	s_waitcnt lgkmcnt(0)                                       // 0000000078F8: BF8CC07F
	s_setvskip s20, 0                                          // 0000000078FC: BF108014
	global_atomic_pk_add_bf16 v80, v64, s[8:9]                 // 000000007900: DD488000 00084050
	s_setvskip 0, 0                                            // 000000007908: BF108080
	s_setvskip s20, 0                                          // 00000000790C: BF108014
	global_atomic_pk_add_bf16 v80, v65, s[8:9] offset:256      // 000000007910: DD488100 00084150
	s_setvskip 0, 0                                            // 000000007918: BF108080
	s_setvskip s20, 1                                          // 00000000791C: BF108114
	global_atomic_pk_add_bf16 v82, v66, s[8:9]                 // 000000007920: DD488000 00084252
	s_setvskip 0, 0                                            // 000000007928: BF108080
	s_setvskip s20, 1                                          // 00000000792C: BF108114
	global_atomic_pk_add_bf16 v82, v67, s[8:9] offset:256      // 000000007930: DD488100 00084352
	s_setvskip 0, 0                                            // 000000007938: BF108080
	s_setvskip s20, 2                                          // 00000000793C: BF108214
	global_atomic_pk_add_bf16 v84, v68, s[8:9]                 // 000000007940: DD488000 00084454
	s_setvskip 0, 0                                            // 000000007948: BF108080
	s_setvskip s20, 2                                          // 00000000794C: BF108214
	global_atomic_pk_add_bf16 v84, v69, s[8:9] offset:256      // 000000007950: DD488100 00084554
	s_setvskip 0, 0                                            // 000000007958: BF108080
	s_setvskip s20, 3                                          // 00000000795C: BF108314
	global_atomic_pk_add_bf16 v86, v70, s[8:9]                 // 000000007960: DD488000 00084656
	s_setvskip 0, 0                                            // 000000007968: BF108080
	s_setvskip s20, 3                                          // 00000000796C: BF108314
	global_atomic_pk_add_bf16 v86, v71, s[8:9] offset:256      // 000000007970: DD488100 00084756
	s_setvskip 0, 0                                            // 000000007978: BF108080
	s_setvskip s20, 4                                          // 00000000797C: BF108414
	global_atomic_pk_add_bf16 v88, v72, s[8:9]                 // 000000007980: DD488000 00084858
	s_setvskip 0, 0                                            // 000000007988: BF108080
	s_setvskip s20, 4                                          // 00000000798C: BF108414
	global_atomic_pk_add_bf16 v88, v73, s[8:9] offset:256      // 000000007990: DD488100 00084958
	s_setvskip 0, 0                                            // 000000007998: BF108080
	s_setvskip s20, 5                                          // 00000000799C: BF108514
	global_atomic_pk_add_bf16 v90, v74, s[8:9]                 // 0000000079A0: DD488000 00084A5A
	s_setvskip 0, 0                                            // 0000000079A8: BF108080
	s_setvskip s20, 5                                          // 0000000079AC: BF108514
	global_atomic_pk_add_bf16 v90, v75, s[8:9] offset:256      // 0000000079B0: DD488100 00084B5A
	s_setvskip 0, 0                                            // 0000000079B8: BF108080
	s_setvskip s20, 6                                          // 0000000079BC: BF108614
	global_atomic_pk_add_bf16 v92, v76, s[8:9]                 // 0000000079C0: DD488000 00084C5C
	s_setvskip 0, 0                                            // 0000000079C8: BF108080
	s_setvskip s20, 6                                          // 0000000079CC: BF108614
	global_atomic_pk_add_bf16 v92, v77, s[8:9] offset:256      // 0000000079D0: DD488100 00084D5C
	s_setvskip 0, 0                                            // 0000000079D8: BF108080
	s_setvskip s20, 7                                          // 0000000079DC: BF108714
	global_atomic_pk_add_bf16 v94, v78, s[8:9]                 // 0000000079E0: DD488000 00084E5E
	s_setvskip 0, 0                                            // 0000000079E8: BF108080
	s_setvskip s20, 7                                          // 0000000079EC: BF108714
	global_atomic_pk_add_bf16 v94, v79, s[8:9] offset:256      // 0000000079F0: DD488100 00084F5E
	s_setvskip 0, 0                                            // 0000000079F8: BF108080
	s_branch label_13D6                                        // 0000000079FC: BF8200D6

0000000000007a00 <label_1300>:
	ds_read_b32 v64, v4 offset:18688                           // 000000007A00: D86C4900 40000004
	ds_read_b32 v65, v4 offset:23040                           // 000000007A08: D86C5A00 41000004
	ds_read_b32 v66, v4 offset:18720                           // 000000007A10: D86C4920 42000004
	ds_read_b32 v67, v4 offset:23072                           // 000000007A18: D86C5A20 43000004
	ds_read_b32 v68, v4 offset:18752                           // 000000007A20: D86C4940 44000004
	ds_read_b32 v69, v4 offset:23104                           // 000000007A28: D86C5A40 45000004
	ds_read_b32 v70, v4 offset:18784                           // 000000007A30: D86C4960 46000004
	ds_read_b32 v71, v4 offset:23136                           // 000000007A38: D86C5A60 47000004
	ds_read_b32 v72, v4 offset:27392                           // 000000007A40: D86C6B00 48000004
	ds_read_b32 v73, v4 offset:31744                           // 000000007A48: D86C7C00 49000004
	ds_read_b32 v74, v4 offset:27424                           // 000000007A50: D86C6B20 4A000004
	ds_read_b32 v75, v4 offset:31776                           // 000000007A58: D86C7C20 4B000004
	ds_read_b32 v76, v4 offset:27456                           // 000000007A60: D86C6B40 4C000004
	ds_read_b32 v77, v4 offset:31808                           // 000000007A68: D86C7C40 4D000004
	ds_read_b32 v78, v4 offset:27488                           // 000000007A70: D86C6B60 4E000004
	ds_read_b32 v79, v4 offset:31840                           // 000000007A78: D86C7C60 4F000004
	s_waitcnt lgkmcnt(0)                                       // 000000007A80: BF8CC07F
	s_setvskip s20, 0                                          // 000000007A84: BF108014
	global_atomic_pk_add_bf16 v80, v64, s[8:9]                 // 000000007A88: DD488000 00084050
	s_setvskip 0, 0                                            // 000000007A90: BF108080
	s_setvskip s20, 0                                          // 000000007A94: BF108014
	global_atomic_pk_add_bf16 v80, v65, s[8:9] offset:256      // 000000007A98: DD488100 00084150
	s_setvskip 0, 0                                            // 000000007AA0: BF108080
	s_setvskip s20, 1                                          // 000000007AA4: BF108114
	global_atomic_pk_add_bf16 v82, v66, s[8:9]                 // 000000007AA8: DD488000 00084252
	s_setvskip 0, 0                                            // 000000007AB0: BF108080
	s_setvskip s20, 1                                          // 000000007AB4: BF108114
	global_atomic_pk_add_bf16 v82, v67, s[8:9] offset:256      // 000000007AB8: DD488100 00084352
	s_setvskip 0, 0                                            // 000000007AC0: BF108080
	s_setvskip s20, 2                                          // 000000007AC4: BF108214
	global_atomic_pk_add_bf16 v84, v68, s[8:9]                 // 000000007AC8: DD488000 00084454
	s_setvskip 0, 0                                            // 000000007AD0: BF108080
	s_setvskip s20, 2                                          // 000000007AD4: BF108214
	global_atomic_pk_add_bf16 v84, v69, s[8:9] offset:256      // 000000007AD8: DD488100 00084554
	s_setvskip 0, 0                                            // 000000007AE0: BF108080
	s_setvskip s20, 3                                          // 000000007AE4: BF108314
	global_atomic_pk_add_bf16 v86, v70, s[8:9]                 // 000000007AE8: DD488000 00084656
	s_setvskip 0, 0                                            // 000000007AF0: BF108080
	s_setvskip s20, 3                                          // 000000007AF4: BF108314
	global_atomic_pk_add_bf16 v86, v71, s[8:9] offset:256      // 000000007AF8: DD488100 00084756
	s_setvskip 0, 0                                            // 000000007B00: BF108080
	s_setvskip s20, 4                                          // 000000007B04: BF108414
	global_atomic_pk_add_bf16 v88, v72, s[8:9]                 // 000000007B08: DD488000 00084858
	s_setvskip 0, 0                                            // 000000007B10: BF108080
	s_setvskip s20, 4                                          // 000000007B14: BF108414
	global_atomic_pk_add_bf16 v88, v73, s[8:9] offset:256      // 000000007B18: DD488100 00084958
	s_setvskip 0, 0                                            // 000000007B20: BF108080
	s_setvskip s20, 5                                          // 000000007B24: BF108514
	global_atomic_pk_add_bf16 v90, v74, s[8:9]                 // 000000007B28: DD488000 00084A5A
	s_setvskip 0, 0                                            // 000000007B30: BF108080
	s_setvskip s20, 5                                          // 000000007B34: BF108514
	global_atomic_pk_add_bf16 v90, v75, s[8:9] offset:256      // 000000007B38: DD488100 00084B5A
	s_setvskip 0, 0                                            // 000000007B40: BF108080
	s_setvskip s20, 6                                          // 000000007B44: BF108614
	global_atomic_pk_add_bf16 v92, v76, s[8:9]                 // 000000007B48: DD488000 00084C5C
	s_setvskip 0, 0                                            // 000000007B50: BF108080
	s_setvskip s20, 6                                          // 000000007B54: BF108614
	global_atomic_pk_add_bf16 v92, v77, s[8:9] offset:256      // 000000007B58: DD488100 00084D5C
	s_setvskip 0, 0                                            // 000000007B60: BF108080
	s_setvskip s20, 7                                          // 000000007B64: BF108714
	global_atomic_pk_add_bf16 v94, v78, s[8:9]                 // 000000007B68: DD488000 00084E5E
	s_setvskip 0, 0                                            // 000000007B70: BF108080
	s_setvskip s20, 7                                          // 000000007B74: BF108714
	global_atomic_pk_add_bf16 v94, v79, s[8:9] offset:256      // 000000007B78: DD488100 00084F5E
	s_setvskip 0, 0                                            // 000000007B80: BF108080
	s_add_u32 s8, s59, s8                                      // 000000007B84: 8008083B
	s_addc_u32 s9, 0, s9                                       // 000000007B88: 82090980
	ds_write_b64 v3, v[176:177] offset:36096                   // 000000007B8C: D89A8D00 0000B003
	ds_write_b64 v3, v[178:179] offset:44800                   // 000000007B94: D89AAF00 0000B203
	ds_write_b64 v3, v[180:181] offset:38272                   // 000000007B9C: D89A9580 0000B403
	ds_write_b64 v3, v[182:183] offset:46976                   // 000000007BA4: D89AB780 0000B603
	ds_write_b64 v3, v[184:185] offset:40448                   // 000000007BAC: D89A9E00 0000B803
	ds_write_b64 v3, v[186:187] offset:49152                   // 000000007BB4: D89AC000 0000BA03
	ds_write_b64 v3, v[188:189] offset:42624                   // 000000007BBC: D89AA680 0000BC03
	ds_write_b64 v3, v[190:191] offset:51328                   // 000000007BC4: D89AC880 0000BE03
	s_waitcnt lgkmcnt(0)                                       // 000000007BCC: BF8CC07F
	s_barrier                                                  // 000000007BD0: BF8A0000
	ds_read_b32 v64, v4 offset:36096                           // 000000007BD4: D86C8D00 40000004
	ds_read_b32 v65, v4 offset:40448                           // 000000007BDC: D86C9E00 41000004
	ds_read_b32 v66, v4 offset:36128                           // 000000007BE4: D86C8D20 42000004
	ds_read_b32 v67, v4 offset:40480                           // 000000007BEC: D86C9E20 43000004
	ds_read_b32 v68, v4 offset:36160                           // 000000007BF4: D86C8D40 44000004
	ds_read_b32 v69, v4 offset:40512                           // 000000007BFC: D86C9E40 45000004
	ds_read_b32 v70, v4 offset:36192                           // 000000007C04: D86C8D60 46000004
	ds_read_b32 v71, v4 offset:40544                           // 000000007C0C: D86C9E60 47000004
	ds_read_b32 v72, v4 offset:44800                           // 000000007C14: D86CAF00 48000004
	ds_read_b32 v73, v4 offset:49152                           // 000000007C1C: D86CC000 49000004
	ds_read_b32 v74, v4 offset:44832                           // 000000007C24: D86CAF20 4A000004
	ds_read_b32 v75, v4 offset:49184                           // 000000007C2C: D86CC020 4B000004
	ds_read_b32 v76, v4 offset:44864                           // 000000007C34: D86CAF40 4C000004
	ds_read_b32 v77, v4 offset:49216                           // 000000007C3C: D86CC040 4D000004
	ds_read_b32 v78, v4 offset:44896                           // 000000007C44: D86CAF60 4E000004
	ds_read_b32 v79, v4 offset:49248                           // 000000007C4C: D86CC060 4F000004
	s_waitcnt lgkmcnt(0)                                       // 000000007C54: BF8CC07F
	s_setvskip s20, 0                                          // 000000007C58: BF108014
	global_atomic_pk_add_bf16 v80, v64, s[8:9]                 // 000000007C5C: DD488000 00084050
	s_setvskip 0, 0                                            // 000000007C64: BF108080
	s_setvskip s20, 0                                          // 000000007C68: BF108014
	global_atomic_pk_add_bf16 v80, v65, s[8:9] offset:256      // 000000007C6C: DD488100 00084150
	s_setvskip 0, 0                                            // 000000007C74: BF108080
	s_setvskip s20, 1                                          // 000000007C78: BF108114
	global_atomic_pk_add_bf16 v82, v66, s[8:9]                 // 000000007C7C: DD488000 00084252
	s_setvskip 0, 0                                            // 000000007C84: BF108080
	s_setvskip s20, 1                                          // 000000007C88: BF108114
	global_atomic_pk_add_bf16 v82, v67, s[8:9] offset:256      // 000000007C8C: DD488100 00084352
	s_setvskip 0, 0                                            // 000000007C94: BF108080
	s_setvskip s20, 2                                          // 000000007C98: BF108214
	global_atomic_pk_add_bf16 v84, v68, s[8:9]                 // 000000007C9C: DD488000 00084454
	s_setvskip 0, 0                                            // 000000007CA4: BF108080
	s_setvskip s20, 2                                          // 000000007CA8: BF108214
	global_atomic_pk_add_bf16 v84, v69, s[8:9] offset:256      // 000000007CAC: DD488100 00084554
	s_setvskip 0, 0                                            // 000000007CB4: BF108080
	s_setvskip s20, 3                                          // 000000007CB8: BF108314
	global_atomic_pk_add_bf16 v86, v70, s[8:9]                 // 000000007CBC: DD488000 00084656
	s_setvskip 0, 0                                            // 000000007CC4: BF108080
	s_setvskip s20, 3                                          // 000000007CC8: BF108314
	global_atomic_pk_add_bf16 v86, v71, s[8:9] offset:256      // 000000007CCC: DD488100 00084756
	s_setvskip 0, 0                                            // 000000007CD4: BF108080
	s_setvskip s20, 4                                          // 000000007CD8: BF108414
	global_atomic_pk_add_bf16 v88, v72, s[8:9]                 // 000000007CDC: DD488000 00084858
	s_setvskip 0, 0                                            // 000000007CE4: BF108080
	s_setvskip s20, 4                                          // 000000007CE8: BF108414
	global_atomic_pk_add_bf16 v88, v73, s[8:9] offset:256      // 000000007CEC: DD488100 00084958
	s_setvskip 0, 0                                            // 000000007CF4: BF108080
	s_setvskip s20, 5                                          // 000000007CF8: BF108514
	global_atomic_pk_add_bf16 v90, v74, s[8:9]                 // 000000007CFC: DD488000 00084A5A
	s_setvskip 0, 0                                            // 000000007D04: BF108080
	s_setvskip s20, 5                                          // 000000007D08: BF108514
	global_atomic_pk_add_bf16 v90, v75, s[8:9] offset:256      // 000000007D0C: DD488100 00084B5A
	s_setvskip 0, 0                                            // 000000007D14: BF108080
	s_setvskip s20, 6                                          // 000000007D18: BF108614
	global_atomic_pk_add_bf16 v92, v76, s[8:9]                 // 000000007D1C: DD488000 00084C5C
	s_setvskip 0, 0                                            // 000000007D24: BF108080
	s_setvskip s20, 6                                          // 000000007D28: BF108614
	global_atomic_pk_add_bf16 v92, v77, s[8:9] offset:256      // 000000007D2C: DD488100 00084D5C
	s_setvskip 0, 0                                            // 000000007D34: BF108080
	s_setvskip s20, 7                                          // 000000007D38: BF108714
	global_atomic_pk_add_bf16 v94, v78, s[8:9]                 // 000000007D3C: DD488000 00084E5E
	s_setvskip 0, 0                                            // 000000007D44: BF108080
	s_setvskip s20, 7                                          // 000000007D48: BF108714
	global_atomic_pk_add_bf16 v94, v79, s[8:9] offset:256      // 000000007D4C: DD488100 00084F5E
	s_setvskip 0, 0                                            // 000000007D54: BF108080

0000000000007d58 <label_13D6>:
	s_waitcnt vmcnt(0) expcnt(0) lgkmcnt(0)                    // 000000007D58: BF8C0000
	s_endpgm                                                   // 000000007D5C: BF810000
